;; amdgpu-corpus repo=ROCm/rocFFT kind=compiled arch=gfx950 opt=O3
	.text
	.amdgcn_target "amdgcn-amd-amdhsa--gfx950"
	.amdhsa_code_object_version 6
	.protected	fft_rtc_back_len1210_factors_2_5_11_11_wgs_110_tpt_110_halfLds_sp_ip_CI_unitstride_sbrr_C2R_dirReg ; -- Begin function fft_rtc_back_len1210_factors_2_5_11_11_wgs_110_tpt_110_halfLds_sp_ip_CI_unitstride_sbrr_C2R_dirReg
	.globl	fft_rtc_back_len1210_factors_2_5_11_11_wgs_110_tpt_110_halfLds_sp_ip_CI_unitstride_sbrr_C2R_dirReg
	.p2align	8
	.type	fft_rtc_back_len1210_factors_2_5_11_11_wgs_110_tpt_110_halfLds_sp_ip_CI_unitstride_sbrr_C2R_dirReg,@function
fft_rtc_back_len1210_factors_2_5_11_11_wgs_110_tpt_110_halfLds_sp_ip_CI_unitstride_sbrr_C2R_dirReg: ; @fft_rtc_back_len1210_factors_2_5_11_11_wgs_110_tpt_110_halfLds_sp_ip_CI_unitstride_sbrr_C2R_dirReg
; %bb.0:
	s_load_dwordx2 s[8:9], s[0:1], 0x50
	s_load_dwordx4 s[4:7], s[0:1], 0x0
	s_load_dwordx2 s[10:11], s[0:1], 0x18
	v_mul_u32_u24_e32 v1, 0x254, v0
	v_add_u32_sdwa v6, s2, v1 dst_sel:DWORD dst_unused:UNUSED_PAD src0_sel:DWORD src1_sel:WORD_1
	v_mov_b32_e32 v4, 0
	s_waitcnt lgkmcnt(0)
	v_cmp_lt_u64_e64 s[2:3], s[6:7], 2
	v_mov_b32_e32 v7, v4
	s_and_b64 vcc, exec, s[2:3]
	v_mov_b64_e32 v[2:3], 0
	s_cbranch_vccnz .LBB0_8
; %bb.1:
	s_load_dwordx2 s[2:3], s[0:1], 0x10
	s_add_u32 s12, s10, 8
	s_addc_u32 s13, s11, 0
	s_mov_b64 s[14:15], 1
	v_mov_b64_e32 v[2:3], 0
	s_waitcnt lgkmcnt(0)
	s_add_u32 s16, s2, 8
	s_addc_u32 s17, s3, 0
.LBB0_2:                                ; =>This Inner Loop Header: Depth=1
	s_load_dwordx2 s[18:19], s[16:17], 0x0
                                        ; implicit-def: $vgpr8_vgpr9
	s_waitcnt lgkmcnt(0)
	v_or_b32_e32 v5, s19, v7
	v_cmp_ne_u64_e32 vcc, 0, v[4:5]
	s_and_saveexec_b64 s[2:3], vcc
	s_xor_b64 s[20:21], exec, s[2:3]
	s_cbranch_execz .LBB0_4
; %bb.3:                                ;   in Loop: Header=BB0_2 Depth=1
	v_cvt_f32_u32_e32 v1, s18
	v_cvt_f32_u32_e32 v5, s19
	s_sub_u32 s2, 0, s18
	s_subb_u32 s3, 0, s19
	v_fmac_f32_e32 v1, 0x4f800000, v5
	v_rcp_f32_e32 v1, v1
	s_nop 0
	v_mul_f32_e32 v1, 0x5f7ffffc, v1
	v_mul_f32_e32 v5, 0x2f800000, v1
	v_trunc_f32_e32 v5, v5
	v_fmac_f32_e32 v1, 0xcf800000, v5
	v_cvt_u32_f32_e32 v5, v5
	v_cvt_u32_f32_e32 v1, v1
	v_mul_lo_u32 v8, s2, v5
	v_mul_hi_u32 v10, s2, v1
	v_mul_lo_u32 v9, s3, v1
	v_add_u32_e32 v10, v10, v8
	v_mul_lo_u32 v12, s2, v1
	v_add_u32_e32 v13, v10, v9
	v_mul_hi_u32 v8, v1, v12
	v_mul_hi_u32 v11, v1, v13
	v_mul_lo_u32 v10, v1, v13
	v_mov_b32_e32 v9, v4
	v_lshl_add_u64 v[8:9], v[8:9], 0, v[10:11]
	v_mul_hi_u32 v11, v5, v12
	v_mul_lo_u32 v12, v5, v12
	v_add_co_u32_e32 v8, vcc, v8, v12
	v_mul_hi_u32 v10, v5, v13
	s_nop 0
	v_addc_co_u32_e32 v8, vcc, v9, v11, vcc
	v_mov_b32_e32 v9, v4
	s_nop 0
	v_addc_co_u32_e32 v11, vcc, 0, v10, vcc
	v_mul_lo_u32 v10, v5, v13
	v_lshl_add_u64 v[8:9], v[8:9], 0, v[10:11]
	v_add_co_u32_e32 v1, vcc, v1, v8
	v_mul_lo_u32 v10, s2, v1
	s_nop 0
	v_addc_co_u32_e32 v5, vcc, v5, v9, vcc
	v_mul_lo_u32 v8, s2, v5
	v_mul_hi_u32 v9, s2, v1
	v_add_u32_e32 v8, v9, v8
	v_mul_lo_u32 v9, s3, v1
	v_add_u32_e32 v12, v8, v9
	v_mul_hi_u32 v14, v5, v10
	v_mul_lo_u32 v15, v5, v10
	v_mul_hi_u32 v9, v1, v12
	v_mul_lo_u32 v8, v1, v12
	v_mul_hi_u32 v10, v1, v10
	v_mov_b32_e32 v11, v4
	v_lshl_add_u64 v[8:9], v[10:11], 0, v[8:9]
	v_add_co_u32_e32 v8, vcc, v8, v15
	v_mul_hi_u32 v13, v5, v12
	s_nop 0
	v_addc_co_u32_e32 v8, vcc, v9, v14, vcc
	v_mul_lo_u32 v10, v5, v12
	s_nop 0
	v_addc_co_u32_e32 v11, vcc, 0, v13, vcc
	v_mov_b32_e32 v9, v4
	v_lshl_add_u64 v[8:9], v[8:9], 0, v[10:11]
	v_add_co_u32_e32 v1, vcc, v1, v8
	v_mul_hi_u32 v10, v6, v1
	s_nop 0
	v_addc_co_u32_e32 v5, vcc, v5, v9, vcc
	v_mad_u64_u32 v[8:9], s[2:3], v6, v5, 0
	v_mov_b32_e32 v11, v4
	v_lshl_add_u64 v[8:9], v[10:11], 0, v[8:9]
	v_mad_u64_u32 v[12:13], s[2:3], v7, v1, 0
	v_add_co_u32_e32 v1, vcc, v8, v12
	v_mad_u64_u32 v[10:11], s[2:3], v7, v5, 0
	s_nop 0
	v_addc_co_u32_e32 v8, vcc, v9, v13, vcc
	v_mov_b32_e32 v9, v4
	s_nop 0
	v_addc_co_u32_e32 v11, vcc, 0, v11, vcc
	v_lshl_add_u64 v[8:9], v[8:9], 0, v[10:11]
	v_mul_lo_u32 v1, s19, v8
	v_mul_lo_u32 v5, s18, v9
	v_mad_u64_u32 v[10:11], s[2:3], s18, v8, 0
	v_add3_u32 v1, v11, v5, v1
	v_sub_u32_e32 v5, v7, v1
	v_mov_b32_e32 v11, s19
	v_sub_co_u32_e32 v14, vcc, v6, v10
	v_lshl_add_u64 v[12:13], v[8:9], 0, 1
	s_nop 0
	v_subb_co_u32_e64 v5, s[2:3], v5, v11, vcc
	v_subrev_co_u32_e64 v10, s[2:3], s18, v14
	v_subb_co_u32_e32 v1, vcc, v7, v1, vcc
	s_nop 0
	v_subbrev_co_u32_e64 v5, s[2:3], 0, v5, s[2:3]
	v_cmp_le_u32_e64 s[2:3], s19, v5
	v_cmp_le_u32_e32 vcc, s19, v1
	s_nop 0
	v_cndmask_b32_e64 v11, 0, -1, s[2:3]
	v_cmp_le_u32_e64 s[2:3], s18, v10
	s_nop 1
	v_cndmask_b32_e64 v10, 0, -1, s[2:3]
	v_cmp_eq_u32_e64 s[2:3], s19, v5
	s_nop 1
	v_cndmask_b32_e64 v5, v11, v10, s[2:3]
	v_lshl_add_u64 v[10:11], v[8:9], 0, 2
	v_cmp_ne_u32_e64 s[2:3], 0, v5
	s_nop 1
	v_cndmask_b32_e64 v5, v13, v11, s[2:3]
	v_cndmask_b32_e64 v11, 0, -1, vcc
	v_cmp_le_u32_e32 vcc, s18, v14
	s_nop 1
	v_cndmask_b32_e64 v13, 0, -1, vcc
	v_cmp_eq_u32_e32 vcc, s19, v1
	s_nop 1
	v_cndmask_b32_e32 v1, v11, v13, vcc
	v_cmp_ne_u32_e32 vcc, 0, v1
	v_cndmask_b32_e64 v1, v12, v10, s[2:3]
	s_nop 0
	v_cndmask_b32_e32 v9, v9, v5, vcc
	v_cndmask_b32_e32 v8, v8, v1, vcc
.LBB0_4:                                ;   in Loop: Header=BB0_2 Depth=1
	s_andn2_saveexec_b64 s[2:3], s[20:21]
	s_cbranch_execz .LBB0_6
; %bb.5:                                ;   in Loop: Header=BB0_2 Depth=1
	v_cvt_f32_u32_e32 v1, s18
	s_sub_i32 s20, 0, s18
	v_rcp_iflag_f32_e32 v1, v1
	s_nop 0
	v_mul_f32_e32 v1, 0x4f7ffffe, v1
	v_cvt_u32_f32_e32 v1, v1
	v_mul_lo_u32 v5, s20, v1
	v_mul_hi_u32 v5, v1, v5
	v_add_u32_e32 v1, v1, v5
	v_mul_hi_u32 v1, v6, v1
	v_mul_lo_u32 v5, v1, s18
	v_sub_u32_e32 v5, v6, v5
	v_add_u32_e32 v8, 1, v1
	v_subrev_u32_e32 v9, s18, v5
	v_cmp_le_u32_e32 vcc, s18, v5
	s_nop 1
	v_cndmask_b32_e32 v5, v5, v9, vcc
	v_cndmask_b32_e32 v1, v1, v8, vcc
	v_add_u32_e32 v8, 1, v1
	v_cmp_le_u32_e32 vcc, s18, v5
	v_mov_b32_e32 v9, v4
	s_nop 0
	v_cndmask_b32_e32 v8, v1, v8, vcc
.LBB0_6:                                ;   in Loop: Header=BB0_2 Depth=1
	s_or_b64 exec, exec, s[2:3]
	v_mad_u64_u32 v[10:11], s[2:3], v8, s18, 0
	s_load_dwordx2 s[2:3], s[12:13], 0x0
	v_mul_lo_u32 v1, v9, s18
	v_mul_lo_u32 v5, v8, s19
	v_add3_u32 v1, v11, v5, v1
	v_sub_co_u32_e32 v5, vcc, v6, v10
	s_add_u32 s14, s14, 1
	s_nop 0
	v_subb_co_u32_e32 v1, vcc, v7, v1, vcc
	s_addc_u32 s15, s15, 0
	s_waitcnt lgkmcnt(0)
	v_mul_lo_u32 v1, s2, v1
	v_mul_lo_u32 v6, s3, v5
	v_mad_u64_u32 v[2:3], s[2:3], s2, v5, v[2:3]
	s_add_u32 s12, s12, 8
	v_add3_u32 v3, v6, v3, v1
	s_addc_u32 s13, s13, 0
	v_mov_b64_e32 v[6:7], s[6:7]
	s_add_u32 s16, s16, 8
	v_cmp_ge_u64_e32 vcc, s[14:15], v[6:7]
	s_addc_u32 s17, s17, 0
	s_cbranch_vccnz .LBB0_9
; %bb.7:                                ;   in Loop: Header=BB0_2 Depth=1
	v_mov_b64_e32 v[6:7], v[8:9]
	s_branch .LBB0_2
.LBB0_8:
	v_mov_b64_e32 v[8:9], v[6:7]
.LBB0_9:
	s_lshl_b64 s[2:3], s[6:7], 3
	s_add_u32 s2, s10, s2
	s_addc_u32 s3, s11, s3
	s_load_dwordx2 s[6:7], s[2:3], 0x0
	s_load_dwordx2 s[10:11], s[0:1], 0x20
	s_mov_b32 s2, 0x253c826
	s_waitcnt lgkmcnt(0)
	v_mul_lo_u32 v1, s6, v9
	v_mul_lo_u32 v4, s7, v8
	v_mad_u64_u32 v[2:3], s[0:1], s6, v8, v[2:3]
	v_add3_u32 v3, v4, v3, v1
	v_mul_hi_u32 v1, v0, s2
	v_mul_u32_u24_e32 v1, 0x6e, v1
	v_cmp_gt_u64_e64 s[0:1], s[10:11], v[8:9]
	v_sub_u32_e32 v36, v0, v1
	v_lshl_add_u64 v[38:39], v[2:3], 3, s[8:9]
	s_and_saveexec_b64 s[2:3], s[0:1]
	s_cbranch_execz .LBB0_13
; %bb.10:
	v_mov_b32_e32 v37, 0
	v_lshl_add_u64 v[0:1], v[36:37], 3, v[38:39]
	v_add_co_u32_e32 v10, vcc, 0x1000, v0
	global_load_dwordx2 v[2:3], v[0:1], off
	global_load_dwordx2 v[4:5], v[0:1], off offset:880
	global_load_dwordx2 v[6:7], v[0:1], off offset:1760
	;; [unrolled: 1-line block ×3, first 2 shown]
	v_addc_co_u32_e32 v11, vcc, 0, v1, vcc
	global_load_dwordx2 v[12:13], v[0:1], off offset:3520
	global_load_dwordx2 v[14:15], v[10:11], off offset:304
	global_load_dwordx2 v[16:17], v[10:11], off offset:1184
	global_load_dwordx2 v[18:19], v[10:11], off offset:2064
	v_add_co_u32_e32 v0, vcc, 0x2000, v0
	s_movk_i32 s6, 0x6d
	s_nop 0
	v_addc_co_u32_e32 v1, vcc, 0, v1, vcc
	global_load_dwordx2 v[20:21], v[10:11], off offset:2944
	global_load_dwordx2 v[22:23], v[10:11], off offset:3824
	global_load_dwordx2 v[24:25], v[0:1], off offset:608
	v_lshl_add_u32 v0, v36, 3, 0
	v_cmp_eq_u32_e32 vcc, s6, v36
	v_add_u32_e32 v1, 0x400, v0
	v_add_u32_e32 v10, 0xc00, v0
	;; [unrolled: 1-line block ×4, first 2 shown]
	s_waitcnt vmcnt(9)
	ds_write2_b64 v0, v[2:3], v[4:5] offset1:110
	s_waitcnt vmcnt(7)
	ds_write2_b64 v1, v[6:7], v[8:9] offset0:92 offset1:202
	s_waitcnt vmcnt(5)
	ds_write2_b64 v10, v[12:13], v[14:15] offset0:56 offset1:166
	;; [unrolled: 2-line block ×4, first 2 shown]
	s_waitcnt vmcnt(0)
	ds_write_b64 v0, v[24:25] offset:8800
	s_and_saveexec_b64 s[6:7], vcc
	s_cbranch_execz .LBB0_12
; %bb.11:
	v_add_co_u32_e32 v0, vcc, 0x2000, v38
	v_mov_b32_e32 v36, 0x6d
	s_nop 0
	v_addc_co_u32_e32 v1, vcc, 0, v39, vcc
	global_load_dwordx2 v[0:1], v[0:1], off offset:1488
	s_waitcnt vmcnt(0)
	ds_write_b64 v37, v[0:1] offset:9680
.LBB0_12:
	s_or_b64 exec, exec, s[6:7]
.LBB0_13:
	s_or_b64 exec, exec, s[2:3]
	v_lshlrev_b32_e32 v4, 3, v36
	v_add_u32_e32 v42, 0, v4
	s_waitcnt lgkmcnt(0)
	s_barrier
	v_sub_u32_e32 v5, 0, v4
	ds_read_b32 v1, v42
	ds_read_b32 v2, v5 offset:9680
	s_add_u32 s2, s4, 0x25c0
	s_addc_u32 s3, s5, 0
	v_cmp_ne_u32_e32 vcc, 0, v36
	s_waitcnt lgkmcnt(0)
	v_add_f32_e32 v0, v2, v1
	v_sub_f32_e32 v1, v1, v2
                                        ; implicit-def: $vgpr2_vgpr3
	s_and_saveexec_b64 s[6:7], vcc
	s_xor_b64 s[6:7], exec, s[6:7]
	s_cbranch_execz .LBB0_15
; %bb.14:
	v_mov_b32_e32 v37, 0
	v_lshl_add_u64 v[2:3], v[36:37], 3, s[2:3]
	global_load_dwordx2 v[6:7], v[2:3], off
	ds_read_b32 v11, v5 offset:9684
	ds_read_b32 v12, v42 offset:4
	v_mov_b32_e32 v8, v1
	v_mov_b32_e32 v10, v0
	;; [unrolled: 1-line block ×3, first 2 shown]
	v_mov_b64_e32 v[2:3], v[36:37]
	s_waitcnt lgkmcnt(0)
	v_add_f32_e32 v9, v11, v12
	v_sub_f32_e32 v11, v12, v11
	v_mov_b32_e32 v12, v9
	s_waitcnt vmcnt(0)
	v_pk_mul_f32 v[14:15], v[8:9], v[6:7] op_sel:[0,1]
	v_pk_fma_f32 v[8:9], v[8:9], v[6:7], v[10:11] op_sel:[0,1,0]
	v_mov_b32_e32 v1, v15
	v_mov_b32_e32 v15, v11
	v_pk_fma_f32 v[16:17], v[6:7], v[12:13], v[8:9] neg_lo:[1,0,0] neg_hi:[1,0,0]
	v_pk_fma_f32 v[8:9], v[6:7], v[12:13], v[8:9] op_sel_hi:[0,1,1]
	v_pk_add_f32 v[0:1], v[0:1], v[14:15] neg_lo:[0,1] neg_hi:[0,1]
	v_mov_b32_e32 v17, v9
	v_pk_fma_f32 v[0:1], v[6:7], v[12:13], v[0:1] op_sel_hi:[0,1,1]
	ds_write_b64 v5, v[0:1] offset:9680
	v_mov_b64_e32 v[0:1], v[16:17]
.LBB0_15:
	s_andn2_saveexec_b64 s[6:7], s[6:7]
	s_cbranch_execz .LBB0_17
; %bb.16:
	v_mov_b32_e32 v6, 0
	ds_read_b64 v[2:3], v6 offset:4840
	s_mov_b32 s8, 2.0
	s_mov_b32 s9, -2.0
	s_waitcnt lgkmcnt(0)
	v_pk_mul_f32 v[2:3], v[2:3], s[8:9]
	ds_write_b64 v6, v[2:3] offset:4840
	v_mov_b64_e32 v[2:3], 0
.LBB0_17:
	s_or_b64 exec, exec, s[6:7]
	v_lshl_add_u64 v[2:3], v[2:3], 3, s[2:3]
	global_load_dwordx2 v[6:7], v[2:3], off offset:880
	global_load_dwordx2 v[8:9], v[2:3], off offset:1760
	;; [unrolled: 1-line block ×4, first 2 shown]
	ds_write_b64 v42, v[0:1]
	ds_read_b64 v[0:1], v5 offset:8800
	ds_read_b64 v[14:15], v42 offset:880
	v_cmp_gt_u32_e64 s[2:3], 55, v36
	s_waitcnt lgkmcnt(0)
	v_pk_add_f32 v[16:17], v[14:15], v[0:1]
	v_pk_add_f32 v[0:1], v[14:15], v[0:1] neg_lo:[0,1] neg_hi:[0,1]
	v_mov_b32_e32 v14, v17
	v_mov_b32_e32 v15, v0
	v_mov_b32_e32 v17, v1
	s_waitcnt vmcnt(3)
	v_pk_mul_f32 v[18:19], v[14:15], v[6:7] op_sel:[0,1]
	s_nop 0
	v_pk_add_f32 v[20:21], v[16:17], v[18:19] op_sel:[0,1] op_sel_hi:[1,0]
	v_mov_b32_e32 v17, v18
	v_mov_b32_e32 v0, v19
	v_pk_fma_f32 v[18:19], v[6:7], v[14:15], v[20:21] neg_lo:[1,0,0] neg_hi:[1,0,0]
	v_pk_fma_f32 v[20:21], v[6:7], v[14:15], v[20:21] op_sel_hi:[0,1,1]
	v_pk_add_f32 v[0:1], v[16:17], v[0:1] neg_lo:[0,1] neg_hi:[0,1]
	v_mov_b32_e32 v19, v21
	v_pk_fma_f32 v[0:1], v[6:7], v[14:15], v[0:1] op_sel_hi:[0,1,1]
	ds_write_b64 v42, v[18:19] offset:880
	ds_write_b64 v5, v[0:1] offset:8800
	ds_read_b64 v[0:1], v5 offset:7920
	ds_read_b64 v[6:7], v42 offset:1760
	s_waitcnt lgkmcnt(0)
	v_pk_add_f32 v[14:15], v[6:7], v[0:1]
	v_pk_add_f32 v[0:1], v[6:7], v[0:1] neg_lo:[0,1] neg_hi:[0,1]
	v_mov_b32_e32 v6, v15
	v_mov_b32_e32 v7, v0
	v_mov_b32_e32 v15, v1
	s_waitcnt vmcnt(2)
	v_pk_mul_f32 v[16:17], v[6:7], v[8:9] op_sel:[0,1]
	s_nop 0
	v_pk_add_f32 v[18:19], v[14:15], v[16:17] op_sel:[0,1] op_sel_hi:[1,0]
	v_mov_b32_e32 v15, v16
	v_mov_b32_e32 v0, v17
	v_pk_fma_f32 v[16:17], v[8:9], v[6:7], v[18:19] neg_lo:[1,0,0] neg_hi:[1,0,0]
	v_pk_fma_f32 v[18:19], v[8:9], v[6:7], v[18:19] op_sel_hi:[0,1,1]
	v_pk_add_f32 v[0:1], v[14:15], v[0:1] neg_lo:[0,1] neg_hi:[0,1]
	v_mov_b32_e32 v17, v19
	v_pk_fma_f32 v[0:1], v[8:9], v[6:7], v[0:1] op_sel_hi:[0,1,1]
	ds_write_b64 v42, v[16:17] offset:1760
	ds_write_b64 v5, v[0:1] offset:7920
	ds_read_b64 v[0:1], v5 offset:7040
	ds_read_b64 v[6:7], v42 offset:2640
	;; [unrolled: 21-line block ×3, first 2 shown]
	s_waitcnt lgkmcnt(0)
	v_pk_add_f32 v[8:9], v[6:7], v[0:1]
	v_pk_add_f32 v[0:1], v[6:7], v[0:1] neg_lo:[0,1] neg_hi:[0,1]
	v_mov_b32_e32 v6, v9
	v_mov_b32_e32 v7, v0
	;; [unrolled: 1-line block ×3, first 2 shown]
	s_waitcnt vmcnt(0)
	v_pk_mul_f32 v[10:11], v[6:7], v[12:13] op_sel:[0,1]
	s_nop 0
	v_pk_add_f32 v[14:15], v[8:9], v[10:11] op_sel:[0,1] op_sel_hi:[1,0]
	v_mov_b32_e32 v9, v10
	v_mov_b32_e32 v0, v11
	v_pk_fma_f32 v[10:11], v[12:13], v[6:7], v[14:15] neg_lo:[1,0,0] neg_hi:[1,0,0]
	v_pk_fma_f32 v[14:15], v[12:13], v[6:7], v[14:15] op_sel_hi:[0,1,1]
	v_pk_add_f32 v[0:1], v[8:9], v[0:1] neg_lo:[0,1] neg_hi:[0,1]
	v_mov_b32_e32 v11, v15
	v_pk_fma_f32 v[0:1], v[12:13], v[6:7], v[0:1] op_sel_hi:[0,1,1]
	ds_write_b64 v42, v[10:11] offset:3520
	ds_write_b64 v5, v[0:1] offset:6160
	s_and_saveexec_b64 s[6:7], s[2:3]
	s_cbranch_execz .LBB0_19
; %bb.18:
	v_add_co_u32_e32 v0, vcc, 0x1000, v2
	s_nop 1
	v_addc_co_u32_e32 v1, vcc, 0, v3, vcc
	global_load_dwordx2 v[0:1], v[0:1], off offset:304
	ds_read_b64 v[2:3], v5 offset:5280
	ds_read_b64 v[6:7], v42 offset:4400
	s_waitcnt lgkmcnt(0)
	v_pk_add_f32 v[8:9], v[6:7], v[2:3]
	v_pk_add_f32 v[2:3], v[6:7], v[2:3] neg_lo:[0,1] neg_hi:[0,1]
	v_mov_b32_e32 v6, v9
	v_mov_b32_e32 v7, v2
	v_mov_b32_e32 v9, v3
	s_waitcnt vmcnt(0)
	v_pk_mul_f32 v[10:11], v[6:7], v[0:1] op_sel:[0,1]
	s_nop 0
	v_pk_add_f32 v[12:13], v[8:9], v[10:11] op_sel:[0,1] op_sel_hi:[1,0]
	v_mov_b32_e32 v9, v10
	v_mov_b32_e32 v2, v11
	v_pk_fma_f32 v[10:11], v[0:1], v[6:7], v[12:13] neg_lo:[1,0,0] neg_hi:[1,0,0]
	v_pk_fma_f32 v[12:13], v[0:1], v[6:7], v[12:13] op_sel_hi:[0,1,1]
	v_pk_add_f32 v[2:3], v[8:9], v[2:3] neg_lo:[0,1] neg_hi:[0,1]
	v_mov_b32_e32 v11, v13
	v_pk_fma_f32 v[0:1], v[0:1], v[6:7], v[2:3] op_sel_hi:[0,1,1]
	ds_write_b64 v42, v[10:11] offset:4400
	ds_write_b64 v5, v[0:1] offset:5280
.LBB0_19:
	s_or_b64 exec, exec, s[6:7]
	v_add_u32_e32 v6, 0xc00, v42
	v_add_u32_e32 v0, 0x2000, v42
	s_waitcnt lgkmcnt(0)
	s_barrier
	s_barrier
	ds_read2_b64 v[10:13], v6 offset0:56 offset1:166
	ds_read2_b64 v[14:17], v0 offset0:21 offset1:131
	ds_read2_b64 v[18:21], v42 offset1:110
	v_add_u32_e32 v0, 0x1000, v42
	ds_read2_b64 v[22:25], v0 offset0:93 offset1:203
	v_add_u32_e32 v7, 0x400, v42
	s_waitcnt lgkmcnt(2)
	v_pk_add_f32 v[2:3], v[12:13], v[16:17] neg_lo:[0,1] neg_hi:[0,1]
	v_add_u32_e32 v8, 0x1800, v42
	v_pk_fma_f32 v[0:1], v[12:13], 2.0, v[2:3] op_sel_hi:[1,0,1] neg_lo:[0,0,1] neg_hi:[0,0,1]
	s_waitcnt lgkmcnt(0)
	v_pk_add_f32 v[12:13], v[18:19], v[22:23] neg_lo:[0,1] neg_hi:[0,1]
	ds_read2_b64 v[26:29], v8 offset0:57 offset1:167
	v_pk_fma_f32 v[22:23], v[18:19], 2.0, v[12:13] op_sel_hi:[1,0,1] neg_lo:[0,0,1] neg_hi:[0,0,1]
	ds_read2_b64 v[16:19], v7 offset0:92 offset1:202
	v_add_u32_e32 v43, 0x6e, v36
	v_add_u32_e32 v37, 0xdc, v36
	v_add_u32_e32 v5, v42, v4
	v_pk_add_f32 v[24:25], v[20:21], v[24:25] neg_lo:[0,1] neg_hi:[0,1]
	s_waitcnt lgkmcnt(0)
	v_pk_add_f32 v[26:27], v[16:17], v[26:27] neg_lo:[0,1] neg_hi:[0,1]
	v_lshl_add_u32 v8, v36, 4, 0
	v_pk_add_f32 v[28:29], v[18:19], v[28:29] neg_lo:[0,1] neg_hi:[0,1]
	v_pk_add_f32 v[14:15], v[10:11], v[14:15] neg_lo:[0,1] neg_hi:[0,1]
	v_lshl_add_u32 v9, v43, 4, 0
	v_pk_fma_f32 v[20:21], v[20:21], 2.0, v[24:25] op_sel_hi:[1,0,1] neg_lo:[0,0,1] neg_hi:[0,0,1]
	v_lshl_add_u32 v30, v37, 4, 0
	v_pk_fma_f32 v[16:17], v[16:17], 2.0, v[26:27] op_sel_hi:[1,0,1] neg_lo:[0,0,1] neg_hi:[0,0,1]
	v_add_u32_e32 v31, 0x14a0, v8
	v_pk_fma_f32 v[18:19], v[18:19], 2.0, v[28:29] op_sel_hi:[1,0,1] neg_lo:[0,0,1] neg_hi:[0,0,1]
	v_add_u32_e32 v32, 0x1b80, v8
	v_pk_fma_f32 v[10:11], v[10:11], 2.0, v[14:15] op_sel_hi:[1,0,1] neg_lo:[0,0,1] neg_hi:[0,0,1]
	s_barrier
	ds_write2_b64 v5, v[22:23], v[12:13] offset1:1
	ds_write2_b64 v9, v[20:21], v[24:25] offset1:1
	;; [unrolled: 1-line block ×5, first 2 shown]
	s_and_saveexec_b64 s[6:7], s[2:3]
	s_cbranch_execz .LBB0_21
; %bb.20:
	v_add_u32_e32 v8, 0x2260, v8
	ds_write2_b64 v8, v[0:1], v[2:3] offset1:1
.LBB0_21:
	s_or_b64 exec, exec, s[6:7]
	s_waitcnt lgkmcnt(0)
	s_barrier
	ds_read2_b64 v[8:11], v42 offset1:110
	ds_read2_b64 v[20:23], v7 offset0:114 offset1:224
	ds_read2_b64 v[24:27], v6 offset0:100 offset1:210
	v_add_u32_e32 v6, 0x1400, v42
	ds_read2_b64 v[28:31], v6 offset0:86 offset1:196
	v_add_u32_e32 v6, 0x1c00, v42
	ds_read2_b64 v[32:35], v6 offset0:72 offset1:182
	v_cmp_gt_u32_e32 vcc, 22, v36
                                        ; implicit-def: $vgpr6
                                        ; implicit-def: $vgpr40
	s_and_saveexec_b64 s[2:3], vcc
	s_cbranch_execz .LBB0_23
; %bb.22:
	v_sub_u32_e32 v4, v5, v4
	v_add_u32_e32 v0, 0x680, v42
	ds_read_b64 v[40:41], v4 offset:5632
	v_add_u32_e32 v4, 0x1d80, v42
	ds_read2_b64 v[0:3], v0 offset0:12 offset1:254
	ds_read2_b64 v[4:7], v4 offset0:2 offset1:244
.LBB0_23:
	s_or_b64 exec, exec, s[2:3]
	v_and_b32_e32 v44, 1, v36
	v_lshlrev_b32_e32 v45, 5, v44
	global_load_dwordx4 v[16:19], v45, s[4:5]
	global_load_dwordx4 v[12:15], v45, s[4:5] offset:16
	s_mov_b32 s6, 0x3f737871
	v_lshrrev_b32_e32 v45, 1, v36
	s_mov_b32 s8, 0x3f167918
	v_mul_u32_u24_e32 v45, 10, v45
	s_mov_b32 s2, 0x3e9e377a
	v_or_b32_e32 v45, v45, v44
	v_lshl_add_u32 v45, v45, 3, 0
	s_waitcnt lgkmcnt(0)
	s_barrier
	v_lshrrev_b32_e32 v43, 1, v43
	v_mul_u32_u24_e32 v43, 10, v43
	v_or_b32_e32 v43, v43, v44
	v_lshl_add_u32 v43, v43, 3, 0
	s_waitcnt vmcnt(1)
	v_pk_mul_f32 v[46:47], v[16:17], v[20:21] op_sel:[0,1]
	v_pk_mul_f32 v[48:49], v[18:19], v[24:25] op_sel:[0,1]
	s_waitcnt vmcnt(0)
	v_pk_mul_f32 v[50:51], v[12:13], v[28:29] op_sel:[0,1]
	v_pk_mul_f32 v[52:53], v[14:15], v[32:33] op_sel:[0,1]
	;; [unrolled: 1-line block ×3, first 2 shown]
	v_pk_fma_f32 v[62:63], v[16:17], v[20:21], v[46:47] op_sel:[0,0,1] op_sel_hi:[1,1,0]
	v_pk_fma_f32 v[20:21], v[16:17], v[20:21], v[46:47] op_sel:[0,0,1] op_sel_hi:[1,0,0] neg_lo:[1,0,0] neg_hi:[1,0,0]
	v_pk_fma_f32 v[46:47], v[18:19], v[24:25], v[48:49] op_sel:[0,0,1] op_sel_hi:[1,1,0]
	v_pk_fma_f32 v[24:25], v[18:19], v[24:25], v[48:49] op_sel:[0,0,1] op_sel_hi:[1,0,0] neg_lo:[1,0,0] neg_hi:[1,0,0]
	v_pk_fma_f32 v[48:49], v[12:13], v[28:29], v[50:51] op_sel:[0,0,1] op_sel_hi:[1,1,0]
	v_pk_fma_f32 v[28:29], v[12:13], v[28:29], v[50:51] op_sel:[0,0,1] op_sel_hi:[1,0,0] neg_lo:[1,0,0] neg_hi:[1,0,0]
	v_pk_fma_f32 v[50:51], v[14:15], v[32:33], v[52:53] op_sel:[0,0,1] op_sel_hi:[1,1,0]
	v_pk_fma_f32 v[32:33], v[14:15], v[32:33], v[52:53] op_sel:[0,0,1] op_sel_hi:[1,0,0] neg_lo:[1,0,0] neg_hi:[1,0,0]
	v_pk_mul_f32 v[56:57], v[18:19], v[26:27] op_sel:[0,1]
	v_pk_mul_f32 v[58:59], v[12:13], v[30:31] op_sel:[0,1]
	;; [unrolled: 1-line block ×3, first 2 shown]
	v_pk_fma_f32 v[52:53], v[16:17], v[22:23], v[54:55] op_sel:[0,0,1] op_sel_hi:[1,1,0]
	v_pk_fma_f32 v[22:23], v[16:17], v[22:23], v[54:55] op_sel:[0,0,1] op_sel_hi:[1,0,0] neg_lo:[1,0,0] neg_hi:[1,0,0]
	v_mov_b32_e32 v63, v21
	v_mov_b32_e32 v47, v25
	;; [unrolled: 1-line block ×4, first 2 shown]
	v_pk_fma_f32 v[54:55], v[18:19], v[26:27], v[56:57] op_sel:[0,0,1] op_sel_hi:[1,1,0]
	v_pk_fma_f32 v[26:27], v[18:19], v[26:27], v[56:57] op_sel:[0,0,1] op_sel_hi:[1,0,0] neg_lo:[1,0,0] neg_hi:[1,0,0]
	v_pk_fma_f32 v[56:57], v[12:13], v[30:31], v[58:59] op_sel:[0,0,1] op_sel_hi:[1,1,0]
	v_pk_fma_f32 v[30:31], v[12:13], v[30:31], v[58:59] op_sel:[0,0,1] op_sel_hi:[1,0,0] neg_lo:[1,0,0] neg_hi:[1,0,0]
	v_pk_fma_f32 v[58:59], v[14:15], v[34:35], v[60:61] op_sel:[0,0,1] op_sel_hi:[1,1,0]
	v_pk_fma_f32 v[34:35], v[14:15], v[34:35], v[60:61] op_sel:[0,0,1] op_sel_hi:[1,0,0] neg_lo:[1,0,0] neg_hi:[1,0,0]
	v_mov_b32_e32 v53, v23
	v_pk_add_f32 v[22:23], v[46:47], v[48:49]
	v_pk_add_f32 v[32:33], v[62:63], v[50:51]
	v_mov_b32_e32 v55, v27
	v_mov_b32_e32 v57, v31
	;; [unrolled: 1-line block ×3, first 2 shown]
	v_pk_add_f32 v[20:21], v[8:9], v[62:63]
	v_pk_add_f32 v[24:25], v[62:63], v[50:51] neg_lo:[0,1] neg_hi:[0,1]
	v_pk_add_f32 v[26:27], v[46:47], v[48:49] neg_lo:[0,1] neg_hi:[0,1]
	;; [unrolled: 1-line block ×6, first 2 shown]
	v_pk_fma_f32 v[22:23], v[22:23], 0.5, v[8:9] op_sel_hi:[1,0,1] neg_lo:[1,0,0] neg_hi:[1,0,0]
	v_pk_fma_f32 v[8:9], v[32:33], 0.5, v[8:9] op_sel_hi:[1,0,1] neg_lo:[1,0,0] neg_hi:[1,0,0]
	v_pk_add_f32 v[20:21], v[20:21], v[46:47]
	v_pk_add_f32 v[28:29], v[28:29], v[30:31]
	;; [unrolled: 1-line block ×3, first 2 shown]
	v_pk_fma_f32 v[34:35], v[24:25], s[6:7], v[22:23] op_sel:[1,0,0] op_sel_hi:[0,0,1] neg_lo:[1,0,0] neg_hi:[1,0,0]
	v_pk_fma_f32 v[22:23], v[24:25], s[6:7], v[22:23] op_sel:[1,0,0] op_sel_hi:[0,0,1]
	v_pk_fma_f32 v[46:47], v[26:27], s[6:7], v[8:9] op_sel:[1,0,0] op_sel_hi:[0,0,1]
	v_pk_fma_f32 v[8:9], v[26:27], s[6:7], v[8:9] op_sel:[1,0,0] op_sel_hi:[0,0,1] neg_lo:[1,0,0] neg_hi:[1,0,0]
	v_pk_fma_f32 v[22:23], v[26:27], s[8:9], v[22:23] op_sel:[1,0,0] op_sel_hi:[0,0,1]
	v_pk_fma_f32 v[26:27], v[26:27], s[8:9], v[34:35] op_sel:[1,0,0] op_sel_hi:[0,0,1] neg_lo:[1,0,0] neg_hi:[1,0,0]
	;; [unrolled: 2-line block ×3, first 2 shown]
	v_pk_add_f32 v[20:21], v[20:21], v[48:49]
	v_mov_b32_e32 v34, v26
	v_mov_b32_e32 v35, v23
	v_mov_b32_e32 v46, v24
	v_mov_b32_e32 v47, v9
	v_mov_b32_e32 v9, v25
	v_pk_add_f32 v[64:65], v[54:55], v[56:57]
	v_pk_add_f32 v[20:21], v[20:21], v[50:51]
	v_mov_b32_e32 v23, v27
	v_pk_fma_f32 v[24:25], v[28:29], s[2:3], v[34:35] op_sel_hi:[1,0,1]
	v_pk_fma_f32 v[26:27], v[30:31], s[2:3], v[46:47] op_sel_hi:[1,0,1]
	;; [unrolled: 1-line block ×4, first 2 shown]
	ds_write2_b64 v45, v[20:21], v[24:25] offset1:2
	ds_write2_b64 v45, v[26:27], v[8:9] offset0:4 offset1:6
	ds_write_b64 v45, v[22:23] offset:64
	v_pk_fma_f32 v[8:9], v[64:65], 0.5, v[10:11] op_sel_hi:[1,0,1] neg_lo:[1,0,0] neg_hi:[1,0,0]
	v_pk_add_f32 v[20:21], v[52:53], v[58:59] neg_lo:[0,1] neg_hi:[0,1]
	v_pk_add_f32 v[24:25], v[52:53], v[54:55] neg_lo:[0,1] neg_hi:[0,1]
	;; [unrolled: 1-line block ×3, first 2 shown]
	v_pk_add_f32 v[62:63], v[10:11], v[52:53]
	v_pk_add_f32 v[22:23], v[54:55], v[56:57] neg_lo:[0,1] neg_hi:[0,1]
	v_pk_add_f32 v[24:25], v[24:25], v[26:27]
	v_pk_fma_f32 v[26:27], v[20:21], s[6:7], v[8:9] op_sel:[1,0,0] op_sel_hi:[0,0,1] neg_lo:[1,0,0] neg_hi:[1,0,0]
	v_pk_fma_f32 v[8:9], v[20:21], s[6:7], v[8:9] op_sel:[1,0,0] op_sel_hi:[0,0,1]
	v_pk_add_f32 v[32:33], v[62:63], v[54:55]
	v_pk_fma_f32 v[8:9], v[22:23], s[8:9], v[8:9] op_sel:[1,0,0] op_sel_hi:[0,0,1]
	v_pk_fma_f32 v[26:27], v[22:23], s[8:9], v[26:27] op_sel:[1,0,0] op_sel_hi:[0,0,1] neg_lo:[1,0,0] neg_hi:[1,0,0]
	v_pk_add_f32 v[32:33], v[32:33], v[56:57]
	v_mov_b32_e32 v28, v26
	v_mov_b32_e32 v29, v9
	v_pk_add_f32 v[32:33], v[32:33], v[58:59]
	v_pk_fma_f32 v[28:29], v[24:25], s[2:3], v[28:29] op_sel_hi:[1,0,1]
	ds_write2_b64 v43, v[32:33], v[28:29] offset1:2
	v_pk_add_f32 v[28:29], v[52:53], v[58:59]
	v_pk_add_f32 v[30:31], v[56:57], v[58:59] neg_lo:[0,1] neg_hi:[0,1]
	v_pk_fma_f32 v[10:11], v[28:29], 0.5, v[10:11] op_sel_hi:[1,0,1] neg_lo:[1,0,0] neg_hi:[1,0,0]
	v_pk_add_f32 v[28:29], v[54:55], v[52:53] neg_lo:[0,1] neg_hi:[0,1]
	v_mov_b32_e32 v9, v27
	v_pk_add_f32 v[28:29], v[28:29], v[30:31]
	v_pk_fma_f32 v[30:31], v[22:23], s[6:7], v[10:11] op_sel:[1,0,0] op_sel_hi:[0,0,1]
	v_pk_fma_f32 v[10:11], v[22:23], s[6:7], v[10:11] op_sel:[1,0,0] op_sel_hi:[0,0,1] neg_lo:[1,0,0] neg_hi:[1,0,0]
	v_pk_fma_f32 v[10:11], v[20:21], s[8:9], v[10:11] op_sel:[1,0,0] op_sel_hi:[0,0,1]
	v_pk_fma_f32 v[20:21], v[20:21], s[8:9], v[30:31] op_sel:[1,0,0] op_sel_hi:[0,0,1] neg_lo:[1,0,0] neg_hi:[1,0,0]
	v_mov_b32_e32 v22, v20
	v_mov_b32_e32 v23, v11
	;; [unrolled: 1-line block ×3, first 2 shown]
	v_pk_fma_f32 v[22:23], v[28:29], s[2:3], v[22:23] op_sel_hi:[1,0,1]
	v_pk_fma_f32 v[10:11], v[28:29], s[2:3], v[10:11] op_sel_hi:[1,0,1]
	;; [unrolled: 1-line block ×3, first 2 shown]
	ds_write2_b64 v43, v[22:23], v[10:11] offset0:4 offset1:6
	ds_write_b64 v43, v[8:9] offset:64
	s_and_saveexec_b64 s[10:11], vcc
	s_cbranch_execz .LBB0_25
; %bb.24:
	v_mov_b32_e32 v22, v3
	v_lshrrev_b32_e32 v3, 1, v37
	v_mov_b32_e32 v20, v41
	v_mul_u32_u24_e32 v3, 10, v3
	v_mov_b32_e32 v10, v5
	v_pk_mul_f32 v[20:21], v[20:21], v[18:19] op_sel_hi:[0,1]
	v_pk_mul_f32 v[22:23], v[22:23], v[16:17] op_sel_hi:[0,1]
	v_or_b32_e32 v3, v3, v44
	v_mov_b32_e32 v8, v7
	v_pk_mul_f32 v[10:11], v[10:11], v[12:13] op_sel_hi:[0,1]
	v_lshl_add_u32 v26, v3, 3, 0
	v_pk_fma_f32 v[24:25], v[2:3], v[16:17], v[22:23] op_sel:[0,0,1] op_sel_hi:[1,1,0]
	v_pk_fma_f32 v[2:3], v[2:3], v[16:17], v[22:23] op_sel:[0,0,1] op_sel_hi:[0,1,0] neg_lo:[1,0,0] neg_hi:[1,0,0]
	v_pk_fma_f32 v[16:17], v[40:41], v[18:19], v[20:21] op_sel:[0,0,1] op_sel_hi:[1,1,0]
	v_pk_fma_f32 v[18:19], v[40:41], v[18:19], v[20:21] op_sel:[0,0,1] op_sel_hi:[0,1,0] neg_lo:[1,0,0] neg_hi:[1,0,0]
	v_pk_mul_f32 v[8:9], v[8:9], v[14:15] op_sel_hi:[0,1]
	v_mov_b32_e32 v17, v19
	v_pk_fma_f32 v[18:19], v[4:5], v[12:13], v[10:11] op_sel:[0,0,1] op_sel_hi:[1,1,0]
	v_pk_fma_f32 v[4:5], v[4:5], v[12:13], v[10:11] op_sel:[0,0,1] op_sel_hi:[0,1,0] neg_lo:[1,0,0] neg_hi:[1,0,0]
	v_mov_b32_e32 v19, v5
	v_pk_fma_f32 v[4:5], v[6:7], v[14:15], v[8:9] op_sel:[0,0,1] op_sel_hi:[1,1,0]
	v_pk_fma_f32 v[6:7], v[6:7], v[14:15], v[8:9] op_sel:[0,0,1] op_sel_hi:[0,1,0] neg_lo:[1,0,0] neg_hi:[1,0,0]
	v_mov_b32_e32 v25, v3
	v_mov_b32_e32 v5, v7
	v_pk_add_f32 v[8:9], v[24:25], v[4:5] neg_lo:[0,1] neg_hi:[0,1]
	v_pk_add_f32 v[10:11], v[16:17], v[18:19]
	v_pk_add_f32 v[6:7], v[16:17], v[18:19] neg_lo:[0,1] neg_hi:[0,1]
	v_pk_fma_f32 v[10:11], v[10:11], 0.5, v[0:1] op_sel_hi:[1,0,1] neg_lo:[1,0,0] neg_hi:[1,0,0]
	v_pk_mul_f32 v[12:13], v[8:9], s[6:7] op_sel_hi:[1,0]
	v_pk_add_f32 v[20:21], v[24:25], v[16:17] neg_lo:[0,1] neg_hi:[0,1]
	v_pk_add_f32 v[22:23], v[4:5], v[18:19] neg_lo:[0,1] neg_hi:[0,1]
	v_pk_add_f32 v[2:3], v[0:1], v[24:25]
	v_pk_mul_f32 v[14:15], v[6:7], s[8:9] op_sel_hi:[1,0]
	v_pk_add_f32 v[20:21], v[20:21], v[22:23]
	v_pk_add_f32 v[22:23], v[10:11], v[12:13] op_sel:[0,1] op_sel_hi:[1,0] neg_lo:[0,1] neg_hi:[0,1]
	v_pk_add_f32 v[10:11], v[10:11], v[12:13] op_sel:[0,1] op_sel_hi:[1,0]
	v_pk_add_f32 v[2:3], v[2:3], v[16:17]
	v_pk_add_f32 v[10:11], v[10:11], v[14:15] op_sel:[0,1] op_sel_hi:[1,0]
	v_pk_add_f32 v[12:13], v[22:23], v[14:15] op_sel:[0,1] op_sel_hi:[1,0] neg_lo:[0,1] neg_hi:[0,1]
	v_pk_add_f32 v[2:3], v[2:3], v[18:19]
	v_mov_b32_e32 v14, v12
	v_mov_b32_e32 v15, v11
	v_pk_add_f32 v[2:3], v[2:3], v[4:5]
	v_pk_fma_f32 v[14:15], v[20:21], s[2:3], v[14:15] op_sel_hi:[1,0,1]
	ds_write2_b64 v26, v[2:3], v[14:15] offset1:2
	v_pk_add_f32 v[14:15], v[18:19], v[4:5] neg_lo:[0,1] neg_hi:[0,1]
	v_pk_add_f32 v[4:5], v[24:25], v[4:5]
	v_pk_add_f32 v[2:3], v[16:17], v[24:25] neg_lo:[0,1] neg_hi:[0,1]
	v_pk_fma_f32 v[0:1], v[4:5], 0.5, v[0:1] op_sel_hi:[1,0,1] neg_lo:[1,0,0] neg_hi:[1,0,0]
	v_pk_mul_f32 v[4:5], v[6:7], s[6:7] op_sel_hi:[1,0]
	v_pk_mul_f32 v[6:7], v[8:9], s[8:9] op_sel_hi:[1,0]
	v_pk_add_f32 v[8:9], v[0:1], v[4:5] op_sel:[0,1] op_sel_hi:[1,0]
	v_pk_add_f32 v[0:1], v[0:1], v[4:5] op_sel:[0,1] op_sel_hi:[1,0] neg_lo:[0,1] neg_hi:[0,1]
	v_pk_add_f32 v[4:5], v[8:9], v[6:7] op_sel:[0,1] op_sel_hi:[1,0] neg_lo:[0,1] neg_hi:[0,1]
	v_pk_add_f32 v[0:1], v[0:1], v[6:7] op_sel:[0,1] op_sel_hi:[1,0]
	v_pk_add_f32 v[2:3], v[2:3], v[14:15]
	v_mov_b32_e32 v6, v4
	v_mov_b32_e32 v7, v1
	;; [unrolled: 1-line block ×3, first 2 shown]
	v_pk_fma_f32 v[6:7], v[2:3], s[2:3], v[6:7] op_sel_hi:[1,0,1]
	v_pk_fma_f32 v[0:1], v[2:3], s[2:3], v[0:1] op_sel_hi:[1,0,1]
	v_mov_b32_e32 v11, v13
	ds_write2_b64 v26, v[6:7], v[0:1] offset0:4 offset1:6
	v_pk_fma_f32 v[0:1], v[20:21], s[2:3], v[10:11] op_sel_hi:[1,0,1]
	ds_write_b64 v26, v[0:1] offset:64
.LBB0_25:
	s_or_b64 exec, exec, s[10:11]
	s_movk_i32 s2, 0xcd
	v_mul_lo_u16_sdwa v0, v36, s2 dst_sel:DWORD dst_unused:UNUSED_PAD src0_sel:BYTE_0 src1_sel:DWORD
	v_lshrrev_b16_e32 v37, 11, v0
	v_mul_lo_u16_e32 v0, 10, v37
	v_sub_u16_e32 v43, v36, v0
	v_mov_b32_e32 v0, 10
	v_mul_u32_u24_sdwa v0, v43, v0 dst_sel:DWORD dst_unused:UNUSED_PAD src0_sel:BYTE_0 src1_sel:DWORD
	v_lshlrev_b32_e32 v0, 3, v0
	s_waitcnt lgkmcnt(0)
	s_barrier
	global_load_dwordx4 v[4:7], v0, s[4:5] offset:64
	global_load_dwordx4 v[8:11], v0, s[4:5] offset:80
	;; [unrolled: 1-line block ×5, first 2 shown]
	ds_read2_b64 v[0:3], v42 offset1:110
	v_add_u32_e32 v15, 0x400, v42
	v_add_u32_e32 v14, 0xc00, v42
	;; [unrolled: 1-line block ×4, first 2 shown]
	ds_read_b64 v[40:41], v42 offset:8800
	ds_read2_b64 v[28:31], v15 offset0:92 offset1:202
	ds_read2_b64 v[32:35], v14 offset0:56 offset1:166
	;; [unrolled: 1-line block ×4, first 2 shown]
	v_mov_b32_e32 v52, 3
	v_lshlrev_b32_sdwa v43, v52, v43 dst_sel:DWORD dst_unused:UNUSED_PAD src0_sel:DWORD src1_sel:BYTE_0
	s_waitcnt lgkmcnt(3)
	v_mov_b32_e32 v52, v29
	s_mov_b32 s6, 0xbf0a6770
	s_mov_b32 s2, 0x3f575c64
	;; [unrolled: 1-line block ×10, first 2 shown]
	v_mul_u32_u24_e32 v37, 0x370, v37
	v_add3_u32 v37, 0, v37, v43
	s_waitcnt lgkmcnt(0)
	s_barrier
	s_mov_b32 s30, 0x3e903f40
	s_mov_b32 s28, 0x3f7d64f0
	;; [unrolled: 1-line block ×4, first 2 shown]
	s_waitcnt vmcnt(4)
	v_mov_b32_e32 v54, v7
	v_mov_b32_e32 v55, v6
	v_pk_mul_f32 v[6:7], v[6:7], v[28:29] op_sel_hi:[1,0]
	v_pk_mul_f32 v[72:73], v[4:5], v[2:3] op_sel:[0,1]
	v_pk_fma_f32 v[52:53], v[54:55], v[52:53], v[6:7]
	v_pk_fma_f32 v[6:7], v[54:55], v[28:29], v[6:7] op_sel:[0,1,0] neg_lo:[0,0,1] neg_hi:[0,0,1]
	v_pk_fma_f32 v[54:55], v[4:5], v[2:3], v[72:73] op_sel:[0,0,1] op_sel_hi:[1,1,0]
	v_pk_fma_f32 v[2:3], v[4:5], v[2:3], v[72:73] op_sel:[0,0,1] op_sel_hi:[1,0,0] neg_lo:[1,0,0] neg_hi:[1,0,0]
	s_waitcnt vmcnt(3)
	v_pk_mul_f32 v[56:57], v[8:9], v[30:31] op_sel:[0,1]
	v_mov_b32_e32 v55, v3
	v_pk_mul_f32 v[58:59], v[10:11], v[32:33] op_sel:[0,1]
	v_pk_fma_f32 v[28:29], v[8:9], v[30:31], v[56:57] op_sel:[0,0,1] op_sel_hi:[1,1,0]
	v_pk_fma_f32 v[8:9], v[8:9], v[30:31], v[56:57] op_sel:[0,0,1] op_sel_hi:[1,0,0] neg_lo:[1,0,0] neg_hi:[1,0,0]
	v_mov_b32_e32 v53, v7
	v_pk_add_f32 v[2:3], v[54:55], v[0:1]
	s_waitcnt vmcnt(2)
	v_pk_mul_f32 v[60:61], v[16:17], v[34:35] op_sel:[0,1]
	v_mov_b32_e32 v62, v19
	s_waitcnt vmcnt(1)
	v_pk_mul_f32 v[64:65], v[46:47], v[20:21] op_sel:[0,1]
	s_waitcnt vmcnt(0)
	v_pk_mul_f32 v[68:69], v[50:51], v[24:25] op_sel:[0,1]
	v_pk_fma_f32 v[30:31], v[10:11], v[32:33], v[58:59] op_sel:[0,0,1] op_sel_hi:[1,1,0]
	v_pk_fma_f32 v[10:11], v[10:11], v[32:33], v[58:59] op_sel:[0,0,1] op_sel_hi:[1,0,0] neg_lo:[1,0,0] neg_hi:[1,0,0]
	v_mov_b32_e32 v29, v9
	v_pk_add_f32 v[2:3], v[2:3], v[52:53]
	v_pk_fma_f32 v[32:33], v[16:17], v[34:35], v[60:61] op_sel:[0,0,1] op_sel_hi:[1,1,0]
	v_pk_fma_f32 v[16:17], v[16:17], v[34:35], v[60:61] op_sel:[0,0,1] op_sel_hi:[1,0,0] neg_lo:[1,0,0] neg_hi:[1,0,0]
	v_pk_mul_f32 v[34:35], v[44:45], v[62:63] op_sel_hi:[1,0]
	v_pk_fma_f32 v[56:57], v[46:47], v[20:21], v[64:65] op_sel:[0,0,1] op_sel_hi:[1,1,0]
	v_pk_fma_f32 v[4:5], v[46:47], v[20:21], v[64:65] op_sel:[0,0,1] op_sel_hi:[1,0,0] neg_lo:[0,0,1] neg_hi:[0,0,1]
	v_pk_fma_f32 v[46:47], v[50:51], v[24:25], v[68:69] op_sel:[0,0,1] op_sel_hi:[1,1,0]
	v_pk_fma_f32 v[24:25], v[50:51], v[24:25], v[68:69] op_sel:[0,0,1] op_sel_hi:[1,0,0] neg_lo:[0,0,1] neg_hi:[0,0,1]
	v_mov_b32_e32 v31, v11
	v_pk_add_f32 v[2:3], v[2:3], v[28:29]
	v_mov_b32_e32 v66, v23
	v_mov_b32_e32 v70, v27
	;; [unrolled: 1-line block ×3, first 2 shown]
	v_pk_fma_f32 v[6:7], v[44:45], v[18:19], v[34:35] op_sel:[0,0,1] op_sel_hi:[1,1,0]
	v_pk_fma_f32 v[8:9], v[44:45], v[18:19], v[34:35] op_sel:[0,0,1] op_sel_hi:[1,0,0] neg_lo:[0,0,1] neg_hi:[0,0,1]
	v_mov_b32_e32 v47, v25
	v_pk_add_f32 v[24:25], v[2:3], v[30:31]
	v_pk_mul_f32 v[20:21], v[48:49], v[66:67] op_sel_hi:[1,0]
	v_pk_mul_f32 v[50:51], v[40:41], v[70:71] op_sel_hi:[1,0]
	v_mov_b32_e32 v7, v9
	v_pk_add_f32 v[24:25], v[24:25], v[32:33]
	v_mov_b32_e32 v57, v5
	v_pk_fma_f32 v[10:11], v[48:49], v[22:23], v[20:21] op_sel:[0,0,1] op_sel_hi:[1,1,0]
	v_pk_fma_f32 v[4:5], v[48:49], v[22:23], v[20:21] op_sel:[0,0,1] op_sel_hi:[1,0,0] neg_lo:[0,0,1] neg_hi:[0,0,1]
	v_pk_fma_f32 v[16:17], v[40:41], v[26:27], v[50:51] op_sel:[0,0,1] op_sel_hi:[1,1,0]
	v_pk_fma_f32 v[18:19], v[40:41], v[26:27], v[50:51] op_sel:[0,0,1] op_sel_hi:[1,0,0] neg_lo:[0,0,1] neg_hi:[0,0,1]
	v_pk_add_f32 v[24:25], v[24:25], v[6:7]
	v_mov_b32_e32 v11, v5
	v_mov_b32_e32 v17, v19
	v_pk_add_f32 v[24:25], v[24:25], v[56:57]
	v_pk_add_f32 v[22:23], v[54:55], v[16:17] neg_lo:[0,1] neg_hi:[0,1]
	v_pk_add_f32 v[24:25], v[24:25], v[10:11]
	v_pk_add_f32 v[18:19], v[52:53], v[46:47] neg_lo:[0,1] neg_hi:[0,1]
	v_pk_add_f32 v[20:21], v[54:55], v[16:17]
	v_pk_mul_f32 v[4:5], v[22:23], s[6:7] op_sel_hi:[1,0]
	v_pk_add_f32 v[24:25], v[24:25], v[46:47]
	v_pk_add_f32 v[8:9], v[52:53], v[46:47]
	v_pk_fma_f32 v[2:3], v[20:21], s[2:3], v[4:5] op_sel:[0,0,1] op_sel_hi:[1,0,0]
	v_pk_fma_f32 v[4:5], v[20:21], s[2:3], v[4:5] op_sel:[0,0,1] op_sel_hi:[1,0,0] neg_lo:[0,0,1] neg_hi:[0,0,1]
	v_pk_add_f32 v[16:17], v[24:25], v[16:17]
	v_pk_mul_f32 v[24:25], v[18:19], s[10:11] op_sel_hi:[1,0]
	v_mov_b32_e32 v26, v2
	v_mov_b32_e32 v27, v5
	v_pk_fma_f32 v[34:35], v[8:9], s[8:9], v[24:25] op_sel:[0,0,1] op_sel_hi:[1,0,0]
	v_pk_fma_f32 v[24:25], v[8:9], s[8:9], v[24:25] op_sel:[0,0,1] op_sel_hi:[1,0,0] neg_lo:[0,0,1] neg_hi:[0,0,1]
	v_pk_add_f32 v[26:27], v[26:27], v[0:1]
	v_mov_b32_e32 v40, v34
	v_mov_b32_e32 v41, v25
	v_pk_add_f32 v[26:27], v[40:41], v[26:27]
	v_pk_add_f32 v[40:41], v[28:29], v[10:11]
	v_pk_add_f32 v[10:11], v[28:29], v[10:11] neg_lo:[0,1] neg_hi:[0,1]
	v_pk_mul_f32 v[58:59], v[18:19], s[18:19] op_sel_hi:[1,0]
	v_pk_mul_f32 v[28:29], v[10:11], s[14:15] op_sel_hi:[1,0]
	v_pk_fma_f32 v[60:61], v[8:9], s[16:17], v[58:59] op_sel:[0,0,1] op_sel_hi:[1,0,0]
	v_pk_fma_f32 v[44:45], v[40:41], s[12:13], v[28:29] op_sel:[0,0,1] op_sel_hi:[1,0,0]
	v_pk_fma_f32 v[28:29], v[40:41], s[12:13], v[28:29] op_sel:[0,0,1] op_sel_hi:[1,0,0] neg_lo:[0,0,1] neg_hi:[0,0,1]
	v_mov_b32_e32 v46, v44
	v_mov_b32_e32 v47, v29
	v_pk_add_f32 v[26:27], v[46:47], v[26:27]
	v_pk_add_f32 v[46:47], v[30:31], v[56:57]
	v_pk_add_f32 v[30:31], v[30:31], v[56:57] neg_lo:[0,1] neg_hi:[0,1]
	v_pk_fma_f32 v[58:59], v[8:9], s[16:17], v[58:59] op_sel:[0,0,1] op_sel_hi:[1,0,0] neg_lo:[0,0,1] neg_hi:[0,0,1]
	v_pk_mul_f32 v[48:49], v[30:31], s[18:19] op_sel_hi:[1,0]
	v_mov_b32_e32 v62, v60
	v_pk_fma_f32 v[50:51], v[46:47], s[16:17], v[48:49] op_sel:[0,0,1] op_sel_hi:[1,0,0]
	v_pk_fma_f32 v[48:49], v[46:47], s[16:17], v[48:49] op_sel:[0,0,1] op_sel_hi:[1,0,0] neg_lo:[0,0,1] neg_hi:[0,0,1]
	v_mov_b32_e32 v52, v50
	v_mov_b32_e32 v53, v49
	v_pk_add_f32 v[26:27], v[52:53], v[26:27]
	v_pk_add_f32 v[52:53], v[32:33], v[6:7]
	v_pk_add_f32 v[6:7], v[32:33], v[6:7] neg_lo:[0,1] neg_hi:[0,1]
	v_mov_b32_e32 v63, v59
	v_pk_mul_f32 v[32:33], v[6:7], s[22:23] op_sel_hi:[1,0]
	v_pk_mul_f32 v[80:81], v[18:19], s[30:31] op_sel_hi:[1,0]
	v_pk_fma_f32 v[54:55], v[52:53], s[20:21], v[32:33] op_sel:[0,0,1] op_sel_hi:[1,0,0]
	v_pk_fma_f32 v[32:33], v[52:53], s[20:21], v[32:33] op_sel:[0,0,1] op_sel_hi:[1,0,0] neg_lo:[0,0,1] neg_hi:[0,0,1]
	v_mov_b32_e32 v56, v54
	v_mov_b32_e32 v57, v33
	v_pk_add_f32 v[26:27], v[56:57], v[26:27]
	ds_write2_b64 v37, v[16:17], v[26:27] offset1:10
	v_pk_mul_f32 v[16:17], v[22:23], s[10:11] op_sel_hi:[1,0]
	v_pk_fma_f32 v[82:83], v[8:9], s[20:21], v[80:81] op_sel:[0,0,1] op_sel_hi:[1,0,0]
	v_pk_fma_f32 v[26:27], v[20:21], s[8:9], v[16:17] op_sel:[0,0,1] op_sel_hi:[1,0,0]
	v_pk_fma_f32 v[16:17], v[20:21], s[8:9], v[16:17] op_sel:[0,0,1] op_sel_hi:[1,0,0] neg_lo:[0,0,1] neg_hi:[0,0,1]
	v_mov_b32_e32 v56, v26
	v_mov_b32_e32 v57, v17
	v_pk_add_f32 v[56:57], v[56:57], v[0:1]
	v_pk_fma_f32 v[80:81], v[8:9], s[20:21], v[80:81] op_sel:[0,0,1] op_sel_hi:[1,0,0] neg_lo:[0,0,1] neg_hi:[0,0,1]
	v_pk_add_f32 v[56:57], v[62:63], v[56:57]
	v_pk_mul_f32 v[62:63], v[10:11], s[30:31] op_sel_hi:[1,0]
	v_mov_b32_e32 v84, v82
	v_pk_fma_f32 v[64:65], v[40:41], s[20:21], v[62:63] op_sel:[0,0,1] op_sel_hi:[1,0,0]
	v_pk_fma_f32 v[62:63], v[40:41], s[20:21], v[62:63] op_sel:[0,0,1] op_sel_hi:[1,0,0] neg_lo:[0,0,1] neg_hi:[0,0,1]
	v_mov_b32_e32 v66, v64
	v_mov_b32_e32 v67, v63
	v_pk_add_f32 v[56:57], v[66:67], v[56:57]
	v_pk_mul_f32 v[66:67], v[30:31], s[28:29] op_sel_hi:[1,0]
	v_mov_b32_e32 v85, v81
	v_pk_fma_f32 v[68:69], v[46:47], s[12:13], v[66:67] op_sel:[0,0,1] op_sel_hi:[1,0,0]
	v_pk_fma_f32 v[66:67], v[46:47], s[12:13], v[66:67] op_sel:[0,0,1] op_sel_hi:[1,0,0] neg_lo:[0,0,1] neg_hi:[0,0,1]
	v_mov_b32_e32 v70, v68
	v_mov_b32_e32 v71, v67
	v_pk_add_f32 v[56:57], v[70:71], v[56:57]
	v_pk_mul_f32 v[70:71], v[6:7], s[24:25] op_sel_hi:[1,0]
	v_pk_mul_f32 v[98:99], v[18:19], s[28:29] op_sel_hi:[1,0]
	v_pk_fma_f32 v[72:73], v[52:53], s[2:3], v[70:71] op_sel:[0,0,1] op_sel_hi:[1,0,0]
	v_pk_fma_f32 v[70:71], v[52:53], s[2:3], v[70:71] op_sel:[0,0,1] op_sel_hi:[1,0,0] neg_lo:[0,0,1] neg_hi:[0,0,1]
	v_mov_b32_e32 v74, v72
	v_mov_b32_e32 v75, v71
	v_pk_add_f32 v[56:57], v[74:75], v[56:57]
	v_pk_mul_f32 v[74:75], v[22:23], s[14:15] op_sel_hi:[1,0]
	v_pk_fma_f32 v[100:101], v[8:9], s[12:13], v[98:99] op_sel:[0,0,1] op_sel_hi:[1,0,0]
	v_pk_fma_f32 v[76:77], v[20:21], s[12:13], v[74:75] op_sel:[0,0,1] op_sel_hi:[1,0,0]
	v_pk_fma_f32 v[74:75], v[20:21], s[12:13], v[74:75] op_sel:[0,0,1] op_sel_hi:[1,0,0] neg_lo:[0,0,1] neg_hi:[0,0,1]
	v_mov_b32_e32 v78, v76
	v_mov_b32_e32 v79, v75
	v_pk_add_f32 v[78:79], v[78:79], v[0:1]
	v_pk_fma_f32 v[98:99], v[8:9], s[12:13], v[98:99] op_sel:[0,0,1] op_sel_hi:[1,0,0] neg_lo:[0,0,1] neg_hi:[0,0,1]
	v_pk_add_f32 v[78:79], v[84:85], v[78:79]
	v_pk_mul_f32 v[84:85], v[10:11], s[26:27] op_sel_hi:[1,0]
	v_mov_b32_e32 v102, v100
	v_pk_fma_f32 v[86:87], v[40:41], s[8:9], v[84:85] op_sel:[0,0,1] op_sel_hi:[1,0,0]
	v_pk_fma_f32 v[84:85], v[40:41], s[8:9], v[84:85] op_sel:[0,0,1] op_sel_hi:[1,0,0] neg_lo:[0,0,1] neg_hi:[0,0,1]
	v_mov_b32_e32 v88, v86
	v_mov_b32_e32 v89, v85
	v_pk_add_f32 v[78:79], v[88:89], v[78:79]
	v_pk_mul_f32 v[88:89], v[30:31], s[6:7] op_sel_hi:[1,0]
	v_mov_b32_e32 v103, v99
	v_pk_fma_f32 v[90:91], v[46:47], s[2:3], v[88:89] op_sel:[0,0,1] op_sel_hi:[1,0,0]
	v_pk_fma_f32 v[88:89], v[46:47], s[2:3], v[88:89] op_sel:[0,0,1] op_sel_hi:[1,0,0] neg_lo:[0,0,1] neg_hi:[0,0,1]
	v_mov_b32_e32 v92, v90
	v_mov_b32_e32 v93, v89
	v_pk_add_f32 v[78:79], v[92:93], v[78:79]
	v_pk_mul_f32 v[92:93], v[6:7], s[18:19] op_sel_hi:[1,0]
	v_pk_mul_f32 v[18:19], v[18:19], s[24:25] op_sel_hi:[1,0]
	v_pk_fma_f32 v[94:95], v[52:53], s[16:17], v[92:93] op_sel:[0,0,1] op_sel_hi:[1,0,0]
	v_pk_fma_f32 v[92:93], v[52:53], s[16:17], v[92:93] op_sel:[0,0,1] op_sel_hi:[1,0,0] neg_lo:[0,0,1] neg_hi:[0,0,1]
	v_mov_b32_e32 v96, v94
	v_mov_b32_e32 v97, v93
	v_pk_add_f32 v[78:79], v[96:97], v[78:79]
	ds_write2_b64 v37, v[56:57], v[78:79] offset0:20 offset1:30
	v_pk_mul_f32 v[56:57], v[22:23], s[18:19] op_sel_hi:[1,0]
	v_pk_mul_f32 v[22:23], v[22:23], s[22:23] op_sel_hi:[1,0]
	v_pk_fma_f32 v[78:79], v[20:21], s[16:17], v[56:57] op_sel:[0,0,1] op_sel_hi:[1,0,0]
	v_pk_fma_f32 v[56:57], v[20:21], s[16:17], v[56:57] op_sel:[0,0,1] op_sel_hi:[1,0,0] neg_lo:[0,0,1] neg_hi:[0,0,1]
	v_mov_b32_e32 v96, v78
	v_mov_b32_e32 v97, v57
	v_pk_add_f32 v[96:97], v[96:97], v[0:1]
	v_mov_b32_e32 v57, v79
	v_pk_add_f32 v[96:97], v[102:103], v[96:97]
	v_pk_mul_f32 v[102:103], v[10:11], s[6:7] op_sel_hi:[1,0]
	v_pk_mul_f32 v[10:11], v[10:11], s[18:19] op_sel_hi:[1,0]
	v_pk_fma_f32 v[104:105], v[40:41], s[2:3], v[102:103] op_sel:[0,0,1] op_sel_hi:[1,0,0]
	v_pk_fma_f32 v[102:103], v[40:41], s[2:3], v[102:103] op_sel:[0,0,1] op_sel_hi:[1,0,0] neg_lo:[0,0,1] neg_hi:[0,0,1]
	v_mov_b32_e32 v106, v104
	v_mov_b32_e32 v107, v103
	v_pk_add_f32 v[96:97], v[106:107], v[96:97]
	v_pk_mul_f32 v[106:107], v[30:31], s[22:23] op_sel_hi:[1,0]
	v_pk_mul_f32 v[30:31], v[30:31], s[26:27] op_sel_hi:[1,0]
	v_pk_fma_f32 v[108:109], v[46:47], s[20:21], v[106:107] op_sel:[0,0,1] op_sel_hi:[1,0,0]
	v_pk_fma_f32 v[106:107], v[46:47], s[20:21], v[106:107] op_sel:[0,0,1] op_sel_hi:[1,0,0] neg_lo:[0,0,1] neg_hi:[0,0,1]
	v_mov_b32_e32 v110, v108
	;; [unrolled: 7-line block ×3, first 2 shown]
	v_mov_b32_e32 v115, v111
	v_pk_add_f32 v[96:97], v[114:115], v[96:97]
	v_pk_fma_f32 v[114:115], v[20:21], s[20:21], v[22:23] op_sel:[0,0,1] op_sel_hi:[1,0,0]
	v_pk_fma_f32 v[20:21], v[20:21], s[20:21], v[22:23] op_sel:[0,0,1] op_sel_hi:[1,0,0] neg_lo:[0,0,1] neg_hi:[0,0,1]
	v_pk_fma_f32 v[22:23], v[8:9], s[2:3], v[18:19] op_sel:[0,0,1] op_sel_hi:[1,0,0]
	v_pk_fma_f32 v[8:9], v[8:9], s[2:3], v[18:19] op_sel:[0,0,1] op_sel_hi:[1,0,0] neg_lo:[0,0,1] neg_hi:[0,0,1]
	v_mov_b32_e32 v18, v114
	v_mov_b32_e32 v19, v21
	v_pk_add_f32 v[18:19], v[18:19], v[0:1]
	v_mov_b32_e32 v116, v22
	v_mov_b32_e32 v117, v9
	v_pk_add_f32 v[18:19], v[116:117], v[18:19]
	v_pk_fma_f32 v[116:117], v[40:41], s[16:17], v[10:11] op_sel:[0,0,1] op_sel_hi:[1,0,0]
	v_pk_fma_f32 v[10:11], v[40:41], s[16:17], v[10:11] op_sel:[0,0,1] op_sel_hi:[1,0,0] neg_lo:[0,0,1] neg_hi:[0,0,1]
	v_mov_b32_e32 v40, v116
	v_mov_b32_e32 v41, v11
	v_pk_add_f32 v[18:19], v[40:41], v[18:19]
	v_pk_fma_f32 v[40:41], v[46:47], s[8:9], v[30:31] op_sel:[0,0,1] op_sel_hi:[1,0,0]
	v_pk_fma_f32 v[30:31], v[46:47], s[8:9], v[30:31] op_sel:[0,0,1] op_sel_hi:[1,0,0] neg_lo:[0,0,1] neg_hi:[0,0,1]
	v_mov_b32_e32 v46, v40
	v_mov_b32_e32 v47, v31
	v_pk_add_f32 v[18:19], v[46:47], v[18:19]
	v_pk_fma_f32 v[46:47], v[52:53], s[12:13], v[6:7] op_sel:[0,0,1] op_sel_hi:[1,0,0]
	v_pk_fma_f32 v[6:7], v[52:53], s[12:13], v[6:7] op_sel:[0,0,1] op_sel_hi:[1,0,0] neg_lo:[0,0,1] neg_hi:[0,0,1]
	v_mov_b32_e32 v52, v46
	v_mov_b32_e32 v53, v7
	v_pk_add_f32 v[18:19], v[52:53], v[18:19]
	v_mov_b32_e32 v21, v115
	ds_write2_b64 v37, v[96:97], v[18:19] offset0:40 offset1:50
	v_mov_b32_e32 v9, v23
	v_pk_add_f32 v[18:19], v[20:21], v[0:1]
	v_mov_b32_e32 v11, v117
	v_pk_add_f32 v[8:9], v[8:9], v[18:19]
	;; [unrolled: 2-line block ×5, first 2 shown]
	v_pk_add_f32 v[8:9], v[56:57], v[0:1]
	v_mov_b32_e32 v103, v105
	v_pk_add_f32 v[8:9], v[98:99], v[8:9]
	v_mov_b32_e32 v107, v109
	;; [unrolled: 2-line block ×5, first 2 shown]
	v_mov_b32_e32 v5, v3
	ds_write2_b64 v37, v[6:7], v[8:9] offset0:60 offset1:70
	v_pk_add_f32 v[6:7], v[74:75], v[0:1]
	v_pk_add_f32 v[8:9], v[16:17], v[0:1]
	;; [unrolled: 1-line block ×3, first 2 shown]
	v_mov_b32_e32 v25, v35
	v_pk_add_f32 v[0:1], v[24:25], v[0:1]
	v_mov_b32_e32 v29, v45
	v_mov_b32_e32 v81, v83
	;; [unrolled: 1-line block ×3, first 2 shown]
	v_pk_add_f32 v[0:1], v[28:29], v[0:1]
	v_mov_b32_e32 v49, v51
	v_pk_add_f32 v[6:7], v[80:81], v[6:7]
	v_mov_b32_e32 v85, v87
	v_pk_add_f32 v[8:9], v[58:59], v[8:9]
	v_mov_b32_e32 v63, v65
	v_pk_add_f32 v[0:1], v[48:49], v[0:1]
	v_mov_b32_e32 v33, v55
	v_pk_add_f32 v[6:7], v[84:85], v[6:7]
	v_mov_b32_e32 v89, v91
	v_pk_add_f32 v[8:9], v[62:63], v[8:9]
	v_mov_b32_e32 v67, v69
	v_pk_add_f32 v[0:1], v[32:33], v[0:1]
	v_pk_add_f32 v[6:7], v[88:89], v[6:7]
	v_mov_b32_e32 v93, v95
	v_pk_add_f32 v[8:9], v[66:67], v[8:9]
	v_mov_b32_e32 v71, v73
	ds_write_b64 v37, v[0:1] offset:800
	v_mul_u32_u24_e32 v0, 10, v36
	v_pk_add_f32 v[6:7], v[92:93], v[6:7]
	v_pk_add_f32 v[8:9], v[70:71], v[8:9]
	v_lshlrev_b32_e32 v0, 3, v0
	ds_write2_b64 v37, v[6:7], v[8:9] offset0:80 offset1:90
	s_waitcnt lgkmcnt(0)
	s_barrier
	global_load_dwordx4 v[16:19], v0, s[4:5] offset:864
	global_load_dwordx4 v[8:11], v0, s[4:5] offset:880
	;; [unrolled: 1-line block ×5, first 2 shown]
	ds_read2_b64 v[0:3], v42 offset1:110
	ds_read2_b64 v[32:35], v15 offset0:92 offset1:202
	ds_read2_b64 v[44:47], v14 offset0:56 offset1:166
	;; [unrolled: 1-line block ×4, first 2 shown]
	ds_read_b64 v[40:41], v42 offset:8800
	s_waitcnt lgkmcnt(4)
	v_mov_b32_e32 v4, v33
	s_waitcnt lgkmcnt(0)
	s_barrier
	s_waitcnt vmcnt(4)
	v_mov_b32_e32 v6, v19
	v_mov_b32_e32 v7, v18
	v_pk_mul_f32 v[18:19], v[18:19], v[32:33] op_sel_hi:[1,0]
	s_nop 0
	v_pk_fma_f32 v[4:5], v[6:7], v[4:5], v[18:19]
	v_pk_fma_f32 v[6:7], v[6:7], v[32:33], v[18:19] op_sel:[0,1,0] neg_lo:[0,0,1] neg_hi:[0,0,1]
	s_waitcnt vmcnt(3)
	v_pk_mul_f32 v[18:19], v[8:9], v[34:35] op_sel:[0,1]
	v_mov_b32_e32 v5, v7
	v_pk_fma_f32 v[6:7], v[8:9], v[34:35], v[18:19] op_sel:[0,0,1] op_sel_hi:[1,1,0]
	v_pk_fma_f32 v[8:9], v[8:9], v[34:35], v[18:19] op_sel:[0,0,1] op_sel_hi:[1,0,0] neg_lo:[1,0,0] neg_hi:[1,0,0]
	v_pk_mul_f32 v[18:19], v[10:11], v[44:45] op_sel:[0,1]
	v_mov_b32_e32 v7, v9
	v_pk_fma_f32 v[8:9], v[10:11], v[44:45], v[18:19] op_sel:[0,0,1] op_sel_hi:[1,1,0]
	v_pk_fma_f32 v[10:11], v[10:11], v[44:45], v[18:19] op_sel:[0,0,1] op_sel_hi:[1,0,0] neg_lo:[1,0,0] neg_hi:[1,0,0]
	s_waitcnt vmcnt(2)
	v_pk_mul_f32 v[18:19], v[20:21], v[46:47] op_sel:[0,1]
	v_mov_b32_e32 v9, v11
	v_pk_fma_f32 v[10:11], v[20:21], v[46:47], v[18:19] op_sel:[0,0,1] op_sel_hi:[1,1,0]
	v_pk_fma_f32 v[18:19], v[20:21], v[46:47], v[18:19] op_sel:[0,0,1] op_sel_hi:[1,0,0] neg_lo:[1,0,0] neg_hi:[1,0,0]
	s_nop 0
	v_mov_b32_e32 v18, v23
	v_mov_b32_e32 v11, v19
	v_pk_mul_f32 v[18:19], v[48:49], v[18:19] op_sel_hi:[1,0]
	s_nop 0
	v_pk_fma_f32 v[20:21], v[48:49], v[22:23], v[18:19] op_sel:[0,0,1] op_sel_hi:[1,1,0]
	v_pk_fma_f32 v[18:19], v[48:49], v[22:23], v[18:19] op_sel:[0,0,1] op_sel_hi:[1,0,0] neg_lo:[0,0,1] neg_hi:[0,0,1]
	s_nop 0
	v_mov_b32_e32 v21, v19
	s_waitcnt vmcnt(1)
	v_pk_mul_f32 v[18:19], v[50:51], v[24:25] op_sel:[0,1]
	v_pk_add_f32 v[68:69], v[10:11], v[20:21] neg_lo:[0,1] neg_hi:[0,1]
	v_pk_fma_f32 v[22:23], v[50:51], v[24:25], v[18:19] op_sel:[0,0,1] op_sel_hi:[1,1,0]
	v_pk_fma_f32 v[18:19], v[50:51], v[24:25], v[18:19] op_sel:[0,0,1] op_sel_hi:[1,0,0] neg_lo:[0,0,1] neg_hi:[0,0,1]
	v_pk_mul_f32 v[70:71], v[68:69], s[24:25] op_sel_hi:[1,0]
	v_mov_b32_e32 v18, v27
	v_mov_b32_e32 v23, v19
	v_pk_mul_f32 v[18:19], v[52:53], v[18:19] op_sel_hi:[1,0]
	v_pk_add_f32 v[46:47], v[8:9], v[22:23] neg_lo:[0,1] neg_hi:[0,1]
	v_pk_fma_f32 v[24:25], v[52:53], v[26:27], v[18:19] op_sel:[0,0,1] op_sel_hi:[1,1,0]
	v_pk_fma_f32 v[18:19], v[52:53], v[26:27], v[18:19] op_sel:[0,0,1] op_sel_hi:[1,0,0] neg_lo:[0,0,1] neg_hi:[0,0,1]
	v_pk_add_f32 v[44:45], v[8:9], v[22:23]
	v_mov_b32_e32 v25, v19
	s_waitcnt vmcnt(0)
	v_pk_mul_f32 v[18:19], v[54:55], v[28:29] op_sel:[0,1]
	v_pk_add_f32 v[34:35], v[6:7], v[24:25]
	v_pk_fma_f32 v[26:27], v[54:55], v[28:29], v[18:19] op_sel:[0,0,1] op_sel_hi:[1,1,0]
	v_pk_fma_f32 v[18:19], v[54:55], v[28:29], v[18:19] op_sel:[0,0,1] op_sel_hi:[1,0,0] neg_lo:[0,0,1] neg_hi:[0,0,1]
	s_nop 0
	v_mov_b32_e32 v18, v31
	v_mov_b32_e32 v27, v19
	v_pk_mul_f32 v[18:19], v[40:41], v[18:19] op_sel_hi:[1,0]
	v_pk_add_f32 v[32:33], v[4:5], v[26:27] neg_lo:[0,1] neg_hi:[0,1]
	v_pk_fma_f32 v[28:29], v[40:41], v[30:31], v[18:19] op_sel:[0,0,1] op_sel_hi:[1,1,0]
	v_pk_fma_f32 v[18:19], v[40:41], v[30:31], v[18:19] op_sel:[0,0,1] op_sel_hi:[1,0,0] neg_lo:[0,0,1] neg_hi:[0,0,1]
	v_pk_mul_f32 v[54:55], v[32:33], s[18:19] op_sel_hi:[1,0]
	v_mov_b32_e32 v29, v19
	v_pk_mul_f32 v[18:19], v[16:17], v[2:3] op_sel:[0,1]
	v_pk_add_f32 v[40:41], v[6:7], v[24:25] neg_lo:[0,1] neg_hi:[0,1]
	v_pk_fma_f32 v[30:31], v[16:17], v[2:3], v[18:19] op_sel:[0,0,1] op_sel_hi:[1,1,0]
	v_pk_fma_f32 v[2:3], v[16:17], v[2:3], v[18:19] op_sel:[0,0,1] op_sel_hi:[1,0,0] neg_lo:[1,0,0] neg_hi:[1,0,0]
	v_pk_add_f32 v[18:19], v[4:5], v[26:27]
	v_mov_b32_e32 v31, v3
	v_pk_add_f32 v[16:17], v[30:31], v[28:29] neg_lo:[0,1] neg_hi:[0,1]
	v_pk_add_f32 v[2:3], v[30:31], v[28:29]
	v_pk_mul_f32 v[48:49], v[16:17], s[10:11] op_sel_hi:[1,0]
	v_pk_fma_f32 v[56:57], v[18:19], s[16:17], v[54:55] op_sel:[0,0,1] op_sel_hi:[1,0,0]
	v_pk_fma_f32 v[50:51], v[2:3], s[8:9], v[48:49] op_sel:[0,0,1] op_sel_hi:[1,0,0]
	v_pk_fma_f32 v[48:49], v[2:3], s[8:9], v[48:49] op_sel:[0,0,1] op_sel_hi:[1,0,0] neg_lo:[0,0,1] neg_hi:[0,0,1]
	v_mov_b32_e32 v52, v50
	v_mov_b32_e32 v53, v49
	v_pk_fma_f32 v[54:55], v[18:19], s[16:17], v[54:55] op_sel:[0,0,1] op_sel_hi:[1,0,0] neg_lo:[0,0,1] neg_hi:[0,0,1]
	v_pk_add_f32 v[52:53], v[52:53], v[0:1]
	v_mov_b32_e32 v58, v56
	v_mov_b32_e32 v59, v55
	v_pk_add_f32 v[52:53], v[58:59], v[52:53]
	v_pk_mul_f32 v[58:59], v[40:41], s[30:31] op_sel_hi:[1,0]
	v_pk_mul_f32 v[80:81], v[32:33], s[30:31] op_sel_hi:[1,0]
	v_pk_fma_f32 v[60:61], v[34:35], s[20:21], v[58:59] op_sel:[0,0,1] op_sel_hi:[1,0,0]
	v_pk_fma_f32 v[58:59], v[34:35], s[20:21], v[58:59] op_sel:[0,0,1] op_sel_hi:[1,0,0] neg_lo:[0,0,1] neg_hi:[0,0,1]
	v_mov_b32_e32 v62, v60
	v_mov_b32_e32 v63, v59
	v_pk_add_f32 v[52:53], v[62:63], v[52:53]
	v_pk_mul_f32 v[62:63], v[46:47], s[28:29] op_sel_hi:[1,0]
	v_pk_fma_f32 v[82:83], v[18:19], s[20:21], v[80:81] op_sel:[0,0,1] op_sel_hi:[1,0,0]
	v_pk_fma_f32 v[64:65], v[44:45], s[12:13], v[62:63] op_sel:[0,0,1] op_sel_hi:[1,0,0]
	v_pk_fma_f32 v[62:63], v[44:45], s[12:13], v[62:63] op_sel:[0,0,1] op_sel_hi:[1,0,0] neg_lo:[0,0,1] neg_hi:[0,0,1]
	v_mov_b32_e32 v66, v64
	v_mov_b32_e32 v67, v63
	v_pk_add_f32 v[52:53], v[66:67], v[52:53]
	v_pk_add_f32 v[66:67], v[10:11], v[20:21]
	v_pk_fma_f32 v[80:81], v[18:19], s[20:21], v[80:81] op_sel:[0,0,1] op_sel_hi:[1,0,0] neg_lo:[0,0,1] neg_hi:[0,0,1]
	v_pk_fma_f32 v[72:73], v[66:67], s[2:3], v[70:71] op_sel:[0,0,1] op_sel_hi:[1,0,0]
	v_pk_fma_f32 v[70:71], v[66:67], s[2:3], v[70:71] op_sel:[0,0,1] op_sel_hi:[1,0,0] neg_lo:[0,0,1] neg_hi:[0,0,1]
	v_mov_b32_e32 v74, v72
	v_mov_b32_e32 v75, v71
	v_pk_add_f32 v[52:53], v[74:75], v[52:53]
	v_pk_mul_f32 v[74:75], v[16:17], s[14:15] op_sel_hi:[1,0]
	v_mov_b32_e32 v84, v82
	v_pk_fma_f32 v[76:77], v[2:3], s[12:13], v[74:75] op_sel:[0,0,1] op_sel_hi:[1,0,0]
	v_pk_fma_f32 v[74:75], v[2:3], s[12:13], v[74:75] op_sel:[0,0,1] op_sel_hi:[1,0,0] neg_lo:[0,0,1] neg_hi:[0,0,1]
	v_mov_b32_e32 v78, v76
	v_mov_b32_e32 v79, v75
	v_pk_add_f32 v[78:79], v[78:79], v[0:1]
	v_mov_b32_e32 v85, v81
	v_pk_add_f32 v[78:79], v[84:85], v[78:79]
	v_pk_mul_f32 v[84:85], v[40:41], s[26:27] op_sel_hi:[1,0]
	v_pk_mul_f32 v[98:99], v[32:33], s[28:29] op_sel_hi:[1,0]
	v_pk_fma_f32 v[86:87], v[34:35], s[8:9], v[84:85] op_sel:[0,0,1] op_sel_hi:[1,0,0]
	v_pk_fma_f32 v[84:85], v[34:35], s[8:9], v[84:85] op_sel:[0,0,1] op_sel_hi:[1,0,0] neg_lo:[0,0,1] neg_hi:[0,0,1]
	v_mov_b32_e32 v88, v86
	v_mov_b32_e32 v89, v85
	v_pk_add_f32 v[78:79], v[88:89], v[78:79]
	v_pk_mul_f32 v[88:89], v[46:47], s[6:7] op_sel_hi:[1,0]
	v_pk_fma_f32 v[100:101], v[18:19], s[12:13], v[98:99] op_sel:[0,0,1] op_sel_hi:[1,0,0]
	v_pk_fma_f32 v[90:91], v[44:45], s[2:3], v[88:89] op_sel:[0,0,1] op_sel_hi:[1,0,0]
	v_pk_fma_f32 v[88:89], v[44:45], s[2:3], v[88:89] op_sel:[0,0,1] op_sel_hi:[1,0,0] neg_lo:[0,0,1] neg_hi:[0,0,1]
	v_mov_b32_e32 v92, v90
	v_mov_b32_e32 v93, v89
	v_pk_add_f32 v[78:79], v[92:93], v[78:79]
	v_pk_mul_f32 v[92:93], v[68:69], s[18:19] op_sel_hi:[1,0]
	v_pk_fma_f32 v[98:99], v[18:19], s[12:13], v[98:99] op_sel:[0,0,1] op_sel_hi:[1,0,0] neg_lo:[0,0,1] neg_hi:[0,0,1]
	v_pk_fma_f32 v[94:95], v[66:67], s[16:17], v[92:93] op_sel:[0,0,1] op_sel_hi:[1,0,0]
	v_pk_fma_f32 v[92:93], v[66:67], s[16:17], v[92:93] op_sel:[0,0,1] op_sel_hi:[1,0,0] neg_lo:[0,0,1] neg_hi:[0,0,1]
	v_mov_b32_e32 v96, v94
	v_mov_b32_e32 v97, v93
	v_pk_add_f32 v[78:79], v[96:97], v[78:79]
	ds_write2_b64 v15, v[52:53], v[78:79] offset0:92 offset1:202
	v_pk_mul_f32 v[52:53], v[16:17], s[18:19] op_sel_hi:[1,0]
	v_mov_b32_e32 v102, v100
	v_pk_fma_f32 v[78:79], v[2:3], s[16:17], v[52:53] op_sel:[0,0,1] op_sel_hi:[1,0,0]
	v_pk_fma_f32 v[52:53], v[2:3], s[16:17], v[52:53] op_sel:[0,0,1] op_sel_hi:[1,0,0] neg_lo:[0,0,1] neg_hi:[0,0,1]
	v_mov_b32_e32 v96, v78
	v_mov_b32_e32 v97, v53
	v_pk_add_f32 v[96:97], v[96:97], v[0:1]
	v_mov_b32_e32 v103, v99
	v_pk_add_f32 v[96:97], v[102:103], v[96:97]
	v_pk_mul_f32 v[102:103], v[40:41], s[6:7] op_sel_hi:[1,0]
	v_pk_mul_f32 v[120:121], v[32:33], s[24:25] op_sel_hi:[1,0]
	v_pk_fma_f32 v[104:105], v[34:35], s[2:3], v[102:103] op_sel:[0,0,1] op_sel_hi:[1,0,0]
	v_pk_fma_f32 v[102:103], v[34:35], s[2:3], v[102:103] op_sel:[0,0,1] op_sel_hi:[1,0,0] neg_lo:[0,0,1] neg_hi:[0,0,1]
	v_mov_b32_e32 v106, v104
	v_mov_b32_e32 v107, v103
	v_pk_add_f32 v[96:97], v[106:107], v[96:97]
	v_pk_mul_f32 v[106:107], v[46:47], s[22:23] op_sel_hi:[1,0]
	v_pk_fma_f32 v[122:123], v[18:19], s[2:3], v[120:121] op_sel:[0,0,1] op_sel_hi:[1,0,0]
	v_pk_fma_f32 v[108:109], v[44:45], s[20:21], v[106:107] op_sel:[0,0,1] op_sel_hi:[1,0,0]
	v_pk_fma_f32 v[106:107], v[44:45], s[20:21], v[106:107] op_sel:[0,0,1] op_sel_hi:[1,0,0] neg_lo:[0,0,1] neg_hi:[0,0,1]
	v_mov_b32_e32 v110, v108
	v_mov_b32_e32 v111, v107
	v_pk_add_f32 v[96:97], v[110:111], v[96:97]
	v_pk_mul_f32 v[110:111], v[68:69], s[26:27] op_sel_hi:[1,0]
	v_pk_fma_f32 v[120:121], v[18:19], s[2:3], v[120:121] op_sel:[0,0,1] op_sel_hi:[1,0,0] neg_lo:[0,0,1] neg_hi:[0,0,1]
	v_pk_fma_f32 v[112:113], v[66:67], s[8:9], v[110:111] op_sel:[0,0,1] op_sel_hi:[1,0,0]
	v_pk_fma_f32 v[110:111], v[66:67], s[8:9], v[110:111] op_sel:[0,0,1] op_sel_hi:[1,0,0] neg_lo:[0,0,1] neg_hi:[0,0,1]
	v_mov_b32_e32 v114, v112
	v_mov_b32_e32 v115, v111
	v_pk_add_f32 v[96:97], v[114:115], v[96:97]
	v_pk_mul_f32 v[114:115], v[16:17], s[22:23] op_sel_hi:[1,0]
	v_mov_b32_e32 v124, v122
	v_pk_fma_f32 v[116:117], v[2:3], s[20:21], v[114:115] op_sel:[0,0,1] op_sel_hi:[1,0,0]
	v_pk_fma_f32 v[114:115], v[2:3], s[20:21], v[114:115] op_sel:[0,0,1] op_sel_hi:[1,0,0] neg_lo:[0,0,1] neg_hi:[0,0,1]
	v_mov_b32_e32 v118, v116
	v_mov_b32_e32 v119, v115
	v_pk_add_f32 v[118:119], v[118:119], v[0:1]
	v_mov_b32_e32 v125, v121
	v_pk_add_f32 v[118:119], v[124:125], v[118:119]
	v_pk_mul_f32 v[124:125], v[40:41], s[18:19] op_sel_hi:[1,0]
	v_mov_b32_e32 v115, v117
	v_pk_fma_f32 v[126:127], v[34:35], s[16:17], v[124:125] op_sel:[0,0,1] op_sel_hi:[1,0,0]
	v_pk_fma_f32 v[124:125], v[34:35], s[16:17], v[124:125] op_sel:[0,0,1] op_sel_hi:[1,0,0] neg_lo:[0,0,1] neg_hi:[0,0,1]
	v_mov_b32_e32 v128, v126
	v_mov_b32_e32 v129, v125
	v_pk_add_f32 v[118:119], v[128:129], v[118:119]
	v_pk_mul_f32 v[128:129], v[46:47], s[26:27] op_sel_hi:[1,0]
	v_mov_b32_e32 v53, v79
	v_pk_fma_f32 v[130:131], v[44:45], s[8:9], v[128:129] op_sel:[0,0,1] op_sel_hi:[1,0,0]
	v_pk_fma_f32 v[128:129], v[44:45], s[8:9], v[128:129] op_sel:[0,0,1] op_sel_hi:[1,0,0] neg_lo:[0,0,1] neg_hi:[0,0,1]
	v_mov_b32_e32 v132, v130
	;; [unrolled: 7-line block ×3, first 2 shown]
	v_mov_b32_e32 v137, v133
	v_pk_add_f32 v[118:119], v[136:137], v[118:119]
	ds_write2_b64 v14, v[96:97], v[118:119] offset0:56 offset1:166
	v_pk_add_f32 v[14:15], v[114:115], v[0:1]
	v_mov_b32_e32 v99, v101
	v_pk_add_f32 v[52:53], v[52:53], v[0:1]
	v_pk_add_f32 v[14:15], v[120:121], v[14:15]
	v_mov_b32_e32 v125, v127
	v_pk_add_f32 v[52:53], v[98:99], v[52:53]
	v_mov_b32_e32 v103, v105
	;; [unrolled: 2-line block ×6, first 2 shown]
	v_pk_add_f32 v[14:15], v[132:133], v[14:15]
	v_pk_add_f32 v[52:53], v[110:111], v[52:53]
	ds_write2_b64 v13, v[14:15], v[52:53] offset0:20 offset1:130
	v_pk_add_f32 v[14:15], v[30:31], v[0:1]
	v_mov_b32_e32 v75, v77
	v_pk_add_f32 v[4:5], v[14:15], v[4:5]
	v_mov_b32_e32 v49, v51
	v_pk_add_f32 v[4:5], v[4:5], v[6:7]
	v_pk_mul_f32 v[6:7], v[16:17], s[6:7] op_sel_hi:[1,0]
	v_pk_add_f32 v[4:5], v[4:5], v[8:9]
	v_pk_fma_f32 v[8:9], v[2:3], s[2:3], v[6:7] op_sel:[0,0,1] op_sel_hi:[1,0,0]
	v_pk_fma_f32 v[2:3], v[2:3], s[2:3], v[6:7] op_sel:[0,0,1] op_sel_hi:[1,0,0] neg_lo:[0,0,1] neg_hi:[0,0,1]
	v_pk_mul_f32 v[6:7], v[32:33], s[10:11] op_sel_hi:[1,0]
	v_pk_add_f32 v[4:5], v[4:5], v[10:11]
	v_pk_fma_f32 v[10:11], v[18:19], s[8:9], v[6:7] op_sel:[0,0,1] op_sel_hi:[1,0,0]
	v_pk_fma_f32 v[6:7], v[18:19], s[8:9], v[6:7] op_sel:[0,0,1] op_sel_hi:[1,0,0] neg_lo:[0,0,1] neg_hi:[0,0,1]
	v_mov_b32_e32 v14, v8
	v_mov_b32_e32 v15, v3
	v_pk_add_f32 v[14:15], v[14:15], v[0:1]
	v_mov_b32_e32 v16, v10
	v_mov_b32_e32 v17, v7
	v_pk_add_f32 v[14:15], v[16:17], v[14:15]
	v_pk_mul_f32 v[16:17], v[40:41], s[14:15] op_sel_hi:[1,0]
	v_pk_add_f32 v[4:5], v[4:5], v[20:21]
	v_pk_fma_f32 v[18:19], v[34:35], s[12:13], v[16:17] op_sel:[0,0,1] op_sel_hi:[1,0,0]
	v_pk_fma_f32 v[16:17], v[34:35], s[12:13], v[16:17] op_sel:[0,0,1] op_sel_hi:[1,0,0] neg_lo:[0,0,1] neg_hi:[0,0,1]
	v_mov_b32_e32 v20, v18
	v_mov_b32_e32 v21, v17
	v_pk_add_f32 v[14:15], v[20:21], v[14:15]
	v_pk_mul_f32 v[20:21], v[46:47], s[18:19] op_sel_hi:[1,0]
	v_pk_add_f32 v[4:5], v[4:5], v[22:23]
	v_pk_fma_f32 v[22:23], v[44:45], s[16:17], v[20:21] op_sel:[0,0,1] op_sel_hi:[1,0,0]
	v_pk_fma_f32 v[20:21], v[44:45], s[16:17], v[20:21] op_sel:[0,0,1] op_sel_hi:[1,0,0] neg_lo:[0,0,1] neg_hi:[0,0,1]
	v_pk_add_f32 v[4:5], v[4:5], v[24:25]
	v_mov_b32_e32 v24, v22
	v_mov_b32_e32 v25, v21
	v_pk_add_f32 v[14:15], v[24:25], v[14:15]
	v_pk_mul_f32 v[24:25], v[68:69], s[22:23] op_sel_hi:[1,0]
	v_pk_add_f32 v[4:5], v[4:5], v[26:27]
	v_pk_fma_f32 v[26:27], v[66:67], s[20:21], v[24:25] op_sel:[0,0,1] op_sel_hi:[1,0,0]
	v_pk_fma_f32 v[24:25], v[66:67], s[20:21], v[24:25] op_sel:[0,0,1] op_sel_hi:[1,0,0] neg_lo:[0,0,1] neg_hi:[0,0,1]
	v_pk_add_f32 v[4:5], v[4:5], v[28:29]
	v_mov_b32_e32 v28, v26
	v_mov_b32_e32 v29, v25
	v_pk_add_f32 v[14:15], v[28:29], v[14:15]
	v_mov_b32_e32 v3, v9
	ds_write2_b64 v42, v[4:5], v[14:15] offset1:110
	v_pk_add_f32 v[4:5], v[74:75], v[0:1]
	v_mov_b32_e32 v81, v83
	v_pk_add_f32 v[14:15], v[48:49], v[0:1]
	v_mov_b32_e32 v55, v57
	v_pk_add_f32 v[0:1], v[2:3], v[0:1]
	v_mov_b32_e32 v7, v11
	v_pk_add_f32 v[4:5], v[80:81], v[4:5]
	v_mov_b32_e32 v85, v87
	v_pk_add_f32 v[14:15], v[54:55], v[14:15]
	v_mov_b32_e32 v59, v61
	v_pk_add_f32 v[0:1], v[6:7], v[0:1]
	v_mov_b32_e32 v17, v19
	v_pk_add_f32 v[4:5], v[84:85], v[4:5]
	v_mov_b32_e32 v89, v91
	v_pk_add_f32 v[14:15], v[58:59], v[14:15]
	v_mov_b32_e32 v63, v65
	v_pk_add_f32 v[0:1], v[16:17], v[0:1]
	v_mov_b32_e32 v21, v23
	v_pk_add_f32 v[4:5], v[88:89], v[4:5]
	v_mov_b32_e32 v93, v95
	v_pk_add_f32 v[14:15], v[62:63], v[14:15]
	v_mov_b32_e32 v71, v73
	v_pk_add_f32 v[0:1], v[20:21], v[0:1]
	v_mov_b32_e32 v25, v27
	v_pk_add_f32 v[4:5], v[92:93], v[4:5]
	v_pk_add_f32 v[14:15], v[70:71], v[14:15]
	;; [unrolled: 1-line block ×3, first 2 shown]
	ds_write2_b64 v12, v[4:5], v[14:15] offset0:112 offset1:222
	ds_write_b64 v42, v[0:1] offset:8800
	s_waitcnt lgkmcnt(0)
	s_barrier
	s_and_saveexec_b64 s[2:3], s[0:1]
	s_cbranch_execz .LBB0_27
; %bb.26:
	v_lshl_add_u32 v8, v36, 3, 0
	ds_read2_b64 v[0:3], v8 offset1:110
	v_mov_b32_e32 v37, 0
	v_add_u32_e32 v4, 0x6e, v36
	v_lshl_add_u64 v[6:7], v[36:37], 3, v[38:39]
	v_mov_b32_e32 v5, v37
	s_waitcnt lgkmcnt(0)
	global_store_dwordx2 v[6:7], v[0:1], off
	v_lshl_add_u64 v[0:1], v[4:5], 3, v[38:39]
	v_add_u32_e32 v4, 0x400, v8
	ds_read2_b64 v[4:7], v4 offset0:92 offset1:202
	global_store_dwordx2 v[0:1], v[2:3], off
	v_add_u32_e32 v0, 0xdc, v36
	v_mov_b32_e32 v1, v37
	v_lshl_add_u64 v[0:1], v[0:1], 3, v[38:39]
	s_waitcnt lgkmcnt(0)
	global_store_dwordx2 v[0:1], v[4:5], off
	v_add_u32_e32 v0, 0x14a, v36
	v_mov_b32_e32 v1, v37
	v_lshl_add_u64 v[4:5], v[0:1], 3, v[38:39]
	v_add_u32_e32 v0, 0xc00, v8
	ds_read2_b64 v[0:3], v0 offset0:56 offset1:166
	global_store_dwordx2 v[4:5], v[6:7], off
	v_add_u32_e32 v4, 0x1b8, v36
	v_mov_b32_e32 v5, v37
	v_lshl_add_u64 v[4:5], v[4:5], 3, v[38:39]
	s_waitcnt lgkmcnt(0)
	global_store_dwordx2 v[4:5], v[0:1], off
	v_add_u32_e32 v4, 0x1400, v8
	ds_read2_b64 v[4:7], v4 offset0:20 offset1:130
	v_add_u32_e32 v0, 0x226, v36
	v_mov_b32_e32 v1, v37
	v_lshl_add_u64 v[0:1], v[0:1], 3, v[38:39]
	global_store_dwordx2 v[0:1], v[2:3], off
	v_add_u32_e32 v0, 0x294, v36
	v_mov_b32_e32 v1, v37
	v_lshl_add_u64 v[0:1], v[0:1], 3, v[38:39]
	s_waitcnt lgkmcnt(0)
	global_store_dwordx2 v[0:1], v[4:5], off
	v_add_u32_e32 v0, 0x302, v36
	v_mov_b32_e32 v1, v37
	v_lshl_add_u64 v[4:5], v[0:1], 3, v[38:39]
	v_add_u32_e32 v0, 0x1800, v8
	ds_read2_b64 v[0:3], v0 offset0:112 offset1:222
	global_store_dwordx2 v[4:5], v[6:7], off
	v_add_u32_e32 v4, 0x370, v36
	v_mov_b32_e32 v5, v37
	v_lshl_add_u64 v[4:5], v[4:5], 3, v[38:39]
	s_waitcnt lgkmcnt(0)
	global_store_dwordx2 v[4:5], v[0:1], off
	ds_read_b64 v[4:5], v8 offset:8800
	v_add_u32_e32 v0, 0x3de, v36
	v_mov_b32_e32 v1, v37
	v_lshl_add_u64 v[0:1], v[0:1], 3, v[38:39]
	v_add_u32_e32 v36, 0x44c, v36
	global_store_dwordx2 v[0:1], v[2:3], off
	v_lshl_add_u64 v[0:1], v[36:37], 3, v[38:39]
	s_waitcnt lgkmcnt(0)
	global_store_dwordx2 v[0:1], v[4:5], off
.LBB0_27:
	s_endpgm
	.section	.rodata,"a",@progbits
	.p2align	6, 0x0
	.amdhsa_kernel fft_rtc_back_len1210_factors_2_5_11_11_wgs_110_tpt_110_halfLds_sp_ip_CI_unitstride_sbrr_C2R_dirReg
		.amdhsa_group_segment_fixed_size 0
		.amdhsa_private_segment_fixed_size 0
		.amdhsa_kernarg_size 88
		.amdhsa_user_sgpr_count 2
		.amdhsa_user_sgpr_dispatch_ptr 0
		.amdhsa_user_sgpr_queue_ptr 0
		.amdhsa_user_sgpr_kernarg_segment_ptr 1
		.amdhsa_user_sgpr_dispatch_id 0
		.amdhsa_user_sgpr_kernarg_preload_length 0
		.amdhsa_user_sgpr_kernarg_preload_offset 0
		.amdhsa_user_sgpr_private_segment_size 0
		.amdhsa_uses_dynamic_stack 0
		.amdhsa_enable_private_segment 0
		.amdhsa_system_sgpr_workgroup_id_x 1
		.amdhsa_system_sgpr_workgroup_id_y 0
		.amdhsa_system_sgpr_workgroup_id_z 0
		.amdhsa_system_sgpr_workgroup_info 0
		.amdhsa_system_vgpr_workitem_id 0
		.amdhsa_next_free_vgpr 138
		.amdhsa_next_free_sgpr 32
		.amdhsa_accum_offset 140
		.amdhsa_reserve_vcc 1
		.amdhsa_float_round_mode_32 0
		.amdhsa_float_round_mode_16_64 0
		.amdhsa_float_denorm_mode_32 3
		.amdhsa_float_denorm_mode_16_64 3
		.amdhsa_dx10_clamp 1
		.amdhsa_ieee_mode 1
		.amdhsa_fp16_overflow 0
		.amdhsa_tg_split 0
		.amdhsa_exception_fp_ieee_invalid_op 0
		.amdhsa_exception_fp_denorm_src 0
		.amdhsa_exception_fp_ieee_div_zero 0
		.amdhsa_exception_fp_ieee_overflow 0
		.amdhsa_exception_fp_ieee_underflow 0
		.amdhsa_exception_fp_ieee_inexact 0
		.amdhsa_exception_int_div_zero 0
	.end_amdhsa_kernel
	.text
.Lfunc_end0:
	.size	fft_rtc_back_len1210_factors_2_5_11_11_wgs_110_tpt_110_halfLds_sp_ip_CI_unitstride_sbrr_C2R_dirReg, .Lfunc_end0-fft_rtc_back_len1210_factors_2_5_11_11_wgs_110_tpt_110_halfLds_sp_ip_CI_unitstride_sbrr_C2R_dirReg
                                        ; -- End function
	.section	.AMDGPU.csdata,"",@progbits
; Kernel info:
; codeLenInByte = 8888
; NumSgprs: 38
; NumVgprs: 138
; NumAgprs: 0
; TotalNumVgprs: 138
; ScratchSize: 0
; MemoryBound: 0
; FloatMode: 240
; IeeeMode: 1
; LDSByteSize: 0 bytes/workgroup (compile time only)
; SGPRBlocks: 4
; VGPRBlocks: 17
; NumSGPRsForWavesPerEU: 38
; NumVGPRsForWavesPerEU: 138
; AccumOffset: 140
; Occupancy: 3
; WaveLimiterHint : 1
; COMPUTE_PGM_RSRC2:SCRATCH_EN: 0
; COMPUTE_PGM_RSRC2:USER_SGPR: 2
; COMPUTE_PGM_RSRC2:TRAP_HANDLER: 0
; COMPUTE_PGM_RSRC2:TGID_X_EN: 1
; COMPUTE_PGM_RSRC2:TGID_Y_EN: 0
; COMPUTE_PGM_RSRC2:TGID_Z_EN: 0
; COMPUTE_PGM_RSRC2:TIDIG_COMP_CNT: 0
; COMPUTE_PGM_RSRC3_GFX90A:ACCUM_OFFSET: 34
; COMPUTE_PGM_RSRC3_GFX90A:TG_SPLIT: 0
	.text
	.p2alignl 6, 3212836864
	.fill 256, 4, 3212836864
	.type	__hip_cuid_dcf94494b1d55833,@object ; @__hip_cuid_dcf94494b1d55833
	.section	.bss,"aw",@nobits
	.globl	__hip_cuid_dcf94494b1d55833
__hip_cuid_dcf94494b1d55833:
	.byte	0                               ; 0x0
	.size	__hip_cuid_dcf94494b1d55833, 1

	.ident	"AMD clang version 19.0.0git (https://github.com/RadeonOpenCompute/llvm-project roc-6.4.0 25133 c7fe45cf4b819c5991fe208aaa96edf142730f1d)"
	.section	".note.GNU-stack","",@progbits
	.addrsig
	.addrsig_sym __hip_cuid_dcf94494b1d55833
	.amdgpu_metadata
---
amdhsa.kernels:
  - .agpr_count:     0
    .args:
      - .actual_access:  read_only
        .address_space:  global
        .offset:         0
        .size:           8
        .value_kind:     global_buffer
      - .offset:         8
        .size:           8
        .value_kind:     by_value
      - .actual_access:  read_only
        .address_space:  global
        .offset:         16
        .size:           8
        .value_kind:     global_buffer
      - .actual_access:  read_only
        .address_space:  global
        .offset:         24
        .size:           8
        .value_kind:     global_buffer
      - .offset:         32
        .size:           8
        .value_kind:     by_value
      - .actual_access:  read_only
        .address_space:  global
        .offset:         40
        .size:           8
        .value_kind:     global_buffer
      - .actual_access:  read_only
        .address_space:  global
        .offset:         48
        .size:           8
        .value_kind:     global_buffer
      - .offset:         56
        .size:           4
        .value_kind:     by_value
      - .actual_access:  read_only
        .address_space:  global
        .offset:         64
        .size:           8
        .value_kind:     global_buffer
      - .actual_access:  read_only
        .address_space:  global
        .offset:         72
        .size:           8
        .value_kind:     global_buffer
      - .address_space:  global
        .offset:         80
        .size:           8
        .value_kind:     global_buffer
    .group_segment_fixed_size: 0
    .kernarg_segment_align: 8
    .kernarg_segment_size: 88
    .language:       OpenCL C
    .language_version:
      - 2
      - 0
    .max_flat_workgroup_size: 110
    .name:           fft_rtc_back_len1210_factors_2_5_11_11_wgs_110_tpt_110_halfLds_sp_ip_CI_unitstride_sbrr_C2R_dirReg
    .private_segment_fixed_size: 0
    .sgpr_count:     38
    .sgpr_spill_count: 0
    .symbol:         fft_rtc_back_len1210_factors_2_5_11_11_wgs_110_tpt_110_halfLds_sp_ip_CI_unitstride_sbrr_C2R_dirReg.kd
    .uniform_work_group_size: 1
    .uses_dynamic_stack: false
    .vgpr_count:     138
    .vgpr_spill_count: 0
    .wavefront_size: 64
amdhsa.target:   amdgcn-amd-amdhsa--gfx950
amdhsa.version:
  - 1
  - 2
...

	.end_amdgpu_metadata
